;; amdgpu-corpus repo=ROCm/rocFFT kind=compiled arch=gfx1201 opt=O3
	.text
	.amdgcn_target "amdgcn-amd-amdhsa--gfx1201"
	.amdhsa_code_object_version 6
	.protected	bluestein_single_fwd_len850_dim1_dp_op_CI_CI ; -- Begin function bluestein_single_fwd_len850_dim1_dp_op_CI_CI
	.globl	bluestein_single_fwd_len850_dim1_dp_op_CI_CI
	.p2align	8
	.type	bluestein_single_fwd_len850_dim1_dp_op_CI_CI,@function
bluestein_single_fwd_len850_dim1_dp_op_CI_CI: ; @bluestein_single_fwd_len850_dim1_dp_op_CI_CI
; %bb.0:
	s_load_b128 s[16:19], s[0:1], 0x28
	v_mul_u32_u24_e32 v1, 0x304, v0
	s_mov_b32 s2, exec_lo
	v_mov_b32_e32 v6, 0
	s_delay_alu instid0(VALU_DEP_2) | instskip(NEXT) | instid1(VALU_DEP_1)
	v_lshrrev_b32_e32 v1, 16, v1
	v_add_nc_u32_e32 v5, ttmp9, v1
	s_wait_kmcnt 0x0
	s_delay_alu instid0(VALU_DEP_1)
	v_cmpx_gt_u64_e64 s[16:17], v[5:6]
	s_cbranch_execz .LBB0_10
; %bb.1:
	s_clause 0x1
	s_load_b128 s[4:7], s[0:1], 0x18
	s_load_b128 s[8:11], s[0:1], 0x0
	v_mul_lo_u16 v1, 0x55, v1
	s_mov_b32 s17, 0xbfee6f0e
	s_mov_b32 s20, 0x9b97f4a8
	;; [unrolled: 1-line block ×3, first 2 shown]
                                        ; implicit-def: $vgpr148_vgpr149
                                        ; implicit-def: $vgpr152_vgpr153
                                        ; implicit-def: $vgpr156_vgpr157
                                        ; implicit-def: $vgpr160_vgpr161
                                        ; implicit-def: $vgpr168_vgpr169
                                        ; implicit-def: $vgpr172_vgpr173
	s_delay_alu instid0(VALU_DEP_1) | instskip(NEXT) | instid1(VALU_DEP_1)
	v_sub_nc_u16 v0, v0, v1
	v_and_b32_e32 v8, 0xffff, v0
	s_delay_alu instid0(VALU_DEP_1)
	v_dual_mov_b32 v6, v5 :: v_dual_lshlrev_b32 v255, 4, v8
	s_clause 0x1
	scratch_store_b64 off, v[6:7], off offset:20
	scratch_store_b32 off, v8, off offset:16
	s_wait_kmcnt 0x0
	s_load_b128 s[12:15], s[4:5], 0x0
	s_clause 0x7
	global_load_b128 v[81:84], v255, s[8:9]
	global_load_b128 v[85:88], v255, s[8:9] offset:1360
	global_load_b128 v[89:92], v255, s[8:9] offset:2720
	;; [unrolled: 1-line block ×7, first 2 shown]
	s_wait_kmcnt 0x0
	v_mad_co_u64_u32 v[1:2], null, s14, v5, 0
	v_mad_co_u64_u32 v[3:4], null, s12, v8, 0
	s_mul_u64 s[2:3], s[12:13], 0x550
	s_delay_alu instid0(VALU_DEP_1) | instskip(SKIP_1) | instid1(VALU_DEP_1)
	v_mad_co_u64_u32 v[5:6], null, s15, v5, v[2:3]
	s_mov_b32 s15, 0xbfe2cf23
	v_mad_co_u64_u32 v[6:7], null, s13, v8, v[4:5]
	v_mov_b32_e32 v2, v5
	s_mov_b32 s12, 0x134454ff
	s_mov_b32 s13, 0x3fee6f0e
	s_wait_alu 0xfffe
	s_mov_b32 s16, s12
	v_lshlrev_b64_e32 v[1:2], 4, v[1:2]
	s_delay_alu instid0(VALU_DEP_3) | instskip(NEXT) | instid1(VALU_DEP_2)
	v_mov_b32_e32 v4, v6
	v_add_co_u32 v1, vcc_lo, s18, v1
	s_delay_alu instid0(VALU_DEP_2) | instskip(NEXT) | instid1(VALU_DEP_4)
	v_lshlrev_b64_e32 v[3:4], 4, v[3:4]
	v_add_co_ci_u32_e32 v2, vcc_lo, s19, v2, vcc_lo
	s_mov_b32 s18, 0x372fe950
	s_mov_b32 s19, 0x3fd3c6ef
	s_delay_alu instid0(VALU_DEP_2) | instskip(SKIP_2) | instid1(VALU_DEP_2)
	v_add_co_u32 v1, vcc_lo, v1, v3
	s_wait_alu 0xfffd
	v_add_co_ci_u32_e32 v2, vcc_lo, v2, v4, vcc_lo
	v_add_co_u32 v5, vcc_lo, v1, s2
	s_wait_alu 0xfffd
	s_delay_alu instid0(VALU_DEP_2) | instskip(NEXT) | instid1(VALU_DEP_2)
	v_add_co_ci_u32_e32 v6, vcc_lo, s3, v2, vcc_lo
	v_add_co_u32 v9, vcc_lo, v5, s2
	s_wait_alu 0xfffd
	s_delay_alu instid0(VALU_DEP_2)
	v_add_co_ci_u32_e32 v10, vcc_lo, s3, v6, vcc_lo
	s_clause 0x1
	global_load_b128 v[1:4], v[1:2], off
	global_load_b128 v[5:8], v[5:6], off
	v_add_co_u32 v13, vcc_lo, v9, s2
	s_wait_alu 0xfffd
	v_add_co_ci_u32_e32 v14, vcc_lo, s3, v10, vcc_lo
	s_delay_alu instid0(VALU_DEP_2) | instskip(SKIP_1) | instid1(VALU_DEP_2)
	v_add_co_u32 v17, vcc_lo, v13, s2
	s_wait_alu 0xfffd
	v_add_co_ci_u32_e32 v18, vcc_lo, s3, v14, vcc_lo
	s_clause 0x1
	global_load_b128 v[9:12], v[9:10], off
	global_load_b128 v[13:16], v[13:14], off
	v_add_co_u32 v21, vcc_lo, v17, s2
	s_wait_alu 0xfffd
	v_add_co_ci_u32_e32 v22, vcc_lo, s3, v18, vcc_lo
	global_load_b128 v[17:20], v[17:18], off
	v_add_co_u32 v25, vcc_lo, v21, s2
	s_wait_alu 0xfffd
	v_add_co_ci_u32_e32 v26, vcc_lo, s3, v22, vcc_lo
	;; [unrolled: 4-line block ×4, first 2 shown]
	s_delay_alu instid0(VALU_DEP_2) | instskip(SKIP_1) | instid1(VALU_DEP_2)
	v_add_co_u32 v37, vcc_lo, v33, s2
	s_wait_alu 0xfffd
	v_add_co_ci_u32_e32 v38, vcc_lo, s3, v34, vcc_lo
	global_load_b128 v[29:32], v[29:30], off
	global_load_b128 v[33:36], v[33:34], off
	s_clause 0x1
	global_load_b128 v[113:116], v255, s[8:9] offset:10880
	global_load_b128 v[117:120], v255, s[8:9] offset:12240
	global_load_b128 v[37:40], v[37:38], off
	s_load_b128 s[4:7], s[6:7], 0x0
	s_mov_b32 s2, 0x4755a5e
	s_mov_b32 s3, 0x3fe2cf23
	s_wait_alu 0xfffe
	s_mov_b32 s14, s2
	v_cmp_gt_u16_e32 vcc_lo, 50, v0
	s_wait_loadcnt 0x13
	scratch_store_b128 off, v[81:84], off offset:28 ; 16-byte Folded Spill
	s_wait_loadcnt 0x12
	scratch_store_b128 off, v[85:88], off offset:44 ; 16-byte Folded Spill
	s_wait_loadcnt 0x11
	scratch_store_b128 off, v[89:92], off offset:60 ; 16-byte Folded Spill
	s_wait_loadcnt 0x10
	scratch_store_b128 off, v[93:96], off offset:76 ; 16-byte Folded Spill
	s_wait_loadcnt 0xf
	scratch_store_b128 off, v[97:100], off offset:92 ; 16-byte Folded Spill
	s_wait_loadcnt 0xe
	scratch_store_b128 off, v[101:104], off offset:108 ; 16-byte Folded Spill
	s_wait_loadcnt 0xd
	scratch_store_b128 off, v[105:108], off offset:124 ; 16-byte Folded Spill
	s_wait_loadcnt 0xc
	scratch_store_b128 off, v[109:112], off offset:140 ; 16-byte Folded Spill
	s_wait_loadcnt 0xb
	v_mul_f64_e32 v[41:42], v[3:4], v[83:84]
	v_mul_f64_e32 v[43:44], v[1:2], v[83:84]
	s_wait_loadcnt 0xa
	v_mul_f64_e32 v[45:46], v[7:8], v[87:88]
	v_mul_f64_e32 v[47:48], v[5:6], v[87:88]
	;; [unrolled: 3-line block ×10, first 2 shown]
	v_fma_f64 v[1:2], v[1:2], v[81:82], v[41:42]
	v_fma_f64 v[3:4], v[3:4], v[81:82], -v[43:44]
	v_fma_f64 v[5:6], v[5:6], v[85:86], v[45:46]
	v_fma_f64 v[7:8], v[7:8], v[85:86], -v[47:48]
	s_clause 0x1
	scratch_store_b128 off, v[113:116], off offset:156
	scratch_store_b128 off, v[117:120], off offset:172
	v_fma_f64 v[9:10], v[9:10], v[89:90], v[49:50]
	v_fma_f64 v[11:12], v[11:12], v[89:90], -v[51:52]
	v_fma_f64 v[13:14], v[13:14], v[93:94], v[53:54]
	v_fma_f64 v[15:16], v[15:16], v[93:94], -v[55:56]
	;; [unrolled: 2-line block ×8, first 2 shown]
	ds_store_b128 v255, v[1:4]
	ds_store_b128 v255, v[5:8] offset:1360
	ds_store_b128 v255, v[9:12] offset:2720
	;; [unrolled: 1-line block ×9, first 2 shown]
	global_wb scope:SCOPE_SE
	s_wait_storecnt_dscnt 0x0
	s_wait_kmcnt 0x0
	s_barrier_signal -1
	s_barrier_wait -1
	global_inv scope:SCOPE_SE
	ds_load_b128 v[1:4], v255 offset:4080
	ds_load_b128 v[5:8], v255 offset:6800
	;; [unrolled: 1-line block ×5, first 2 shown]
	s_wait_dscnt 0x3
	v_add_f64_e64 v[65:66], v[1:2], -v[5:6]
	s_wait_dscnt 0x2
	v_add_f64_e32 v[21:22], v[5:6], v[9:10]
	s_wait_dscnt 0x1
	v_add_f64_e32 v[23:24], v[3:4], v[15:16]
	v_add_f64_e32 v[25:26], v[1:2], v[13:14]
	;; [unrolled: 1-line block ×3, first 2 shown]
	v_add_f64_e64 v[41:42], v[3:4], -v[15:16]
	v_add_f64_e64 v[45:46], v[5:6], -v[9:10]
	;; [unrolled: 1-line block ×11, first 2 shown]
	s_wait_dscnt 0x0
	v_add_f64_e32 v[1:2], v[17:18], v[1:2]
	v_add_f64_e32 v[3:4], v[19:20], v[3:4]
	v_fma_f64 v[47:48], v[21:22], -0.5, v[17:18]
	v_fma_f64 v[49:50], v[23:24], -0.5, v[19:20]
	;; [unrolled: 1-line block ×4, first 2 shown]
	ds_load_b128 v[21:24], v255 offset:2720
	ds_load_b128 v[25:28], v255 offset:5440
	;; [unrolled: 1-line block ×4, first 2 shown]
	ds_load_b128 v[37:40], v255
	global_wb scope:SCOPE_SE
	s_wait_dscnt 0x0
	s_barrier_signal -1
	s_barrier_wait -1
	global_inv scope:SCOPE_SE
	v_add_f64_e32 v[1:2], v[1:2], v[5:6]
	v_add_f64_e32 v[3:4], v[3:4], v[7:8]
	;; [unrolled: 1-line block ×8, first 2 shown]
	v_add_f64_e64 v[91:92], v[23:24], -v[35:36]
	v_add_f64_e64 v[93:94], v[27:28], -v[31:32]
	;; [unrolled: 1-line block ×4, first 2 shown]
	v_fma_f64 v[79:80], v[41:42], s[12:13], v[47:48]
	v_fma_f64 v[81:82], v[45:46], s[12:13], v[49:50]
	;; [unrolled: 1-line block ×8, first 2 shown]
	v_add_f64_e32 v[1:2], v[1:2], v[9:10]
	v_add_f64_e32 v[3:4], v[3:4], v[11:12]
	v_fma_f64 v[17:18], v[57:58], -0.5, v[37:38]
	v_fma_f64 v[37:38], v[59:60], -0.5, v[37:38]
	;; [unrolled: 1-line block ×4, first 2 shown]
	v_add_f64_e32 v[59:60], v[65:66], v[67:68]
	v_add_f64_e32 v[63:64], v[73:74], v[75:76]
	;; [unrolled: 1-line block ×3, first 2 shown]
	v_add_f64_e64 v[75:76], v[23:24], -v[27:28]
	v_add_f64_e64 v[23:24], v[27:28], -v[23:24]
	v_add_f64_e32 v[27:28], v[95:96], v[27:28]
	v_add_f64_e64 v[71:72], v[33:34], -v[29:30]
	v_add_f64_e64 v[73:74], v[29:30], -v[33:34]
	v_fma_f64 v[65:66], v[43:44], s[2:3], v[79:80]
	s_wait_alu 0xfffe
	v_fma_f64 v[67:68], v[53:54], s[14:15], v[81:82]
	v_fma_f64 v[69:70], v[41:42], s[14:15], v[83:84]
	;; [unrolled: 1-line block ×5, first 2 shown]
	v_add_f64_e32 v[47:48], v[77:78], v[85:86]
	v_fma_f64 v[51:52], v[45:46], s[2:3], v[87:88]
	v_add_f64_e64 v[53:54], v[21:22], -v[25:26]
	v_add_f64_e64 v[21:22], v[25:26], -v[21:22]
	v_add_f64_e32 v[25:26], v[89:90], v[25:26]
	v_add_f64_e64 v[77:78], v[35:36], -v[31:32]
	v_add_f64_e64 v[79:80], v[31:32], -v[35:36]
	v_fma_f64 v[45:46], v[45:46], s[14:15], v[55:56]
	v_add_f64_e32 v[13:14], v[1:2], v[13:14]
	v_add_f64_e32 v[15:16], v[3:4], v[15:16]
	v_and_b32_e32 v1, 0xff, v0
	v_fma_f64 v[5:6], v[91:92], s[12:13], v[17:18]
	v_fma_f64 v[7:8], v[91:92], s[16:17], v[17:18]
	;; [unrolled: 1-line block ×8, first 2 shown]
	v_add_f64_e32 v[27:28], v[27:28], v[31:32]
	v_fma_f64 v[55:56], v[59:60], s[18:19], v[65:66]
	v_fma_f64 v[65:66], v[63:64], s[18:19], v[67:68]
	;; [unrolled: 1-line block ×7, first 2 shown]
	v_add_f64_e32 v[53:54], v[53:54], v[71:72]
	v_add_f64_e32 v[21:22], v[21:22], v[73:74]
	;; [unrolled: 1-line block ×5, first 2 shown]
	v_fma_f64 v[5:6], v[93:94], s[2:3], v[5:6]
	v_fma_f64 v[7:8], v[93:94], s[14:15], v[7:8]
	;; [unrolled: 1-line block ×9, first 2 shown]
	v_add_f64_e32 v[27:28], v[27:28], v[35:36]
	v_mul_f64_e32 v[39:40], s[20:21], v[55:56]
	v_mul_f64_e32 v[45:46], s[12:13], v[65:66]
	;; [unrolled: 1-line block ×8, first 2 shown]
	v_add_f64_e32 v[25:26], v[25:26], v[33:34]
	v_fma_f64 v[33:34], v[53:54], s[18:19], v[5:6]
	v_fma_f64 v[35:36], v[53:54], s[18:19], v[7:8]
	;; [unrolled: 1-line block ×8, first 2 shown]
	v_add_f64_e32 v[3:4], v[27:28], v[15:16]
	v_add_f64_e64 v[7:8], v[27:28], -v[15:16]
	v_fma_f64 v[29:30], v[37:38], s[2:3], v[39:40]
	v_fma_f64 v[31:32], v[41:42], s[18:19], v[45:46]
	;; [unrolled: 1-line block ×3, first 2 shown]
	v_fma_f64 v[39:40], v[49:50], s[12:13], -v[47:48]
	v_fma_f64 v[47:48], v[65:66], s[18:19], v[61:62]
	v_fma_f64 v[49:50], v[67:68], s[16:17], -v[63:64]
	v_fma_f64 v[41:42], v[51:52], s[2:3], -v[57:58]
	;; [unrolled: 1-line block ×3, first 2 shown]
	v_mul_lo_u16 v52, 0xcd, v1
	v_add_nc_u16 v51, v0, 0x55
	v_add_f64_e32 v[1:2], v[25:26], v[13:14]
	v_add_f64_e64 v[5:6], v[25:26], -v[13:14]
	s_delay_alu instid0(VALU_DEP_3)
	v_and_b32_e32 v55, 0xff, v51
	v_add_f64_e32 v[9:10], v[33:34], v[29:30]
	v_add_f64_e32 v[13:14], v[53:54], v[31:32]
	v_add_f64_e32 v[11:12], v[73:74], v[45:46]
	v_add_f64_e32 v[17:18], v[71:72], v[39:40]
	v_add_f64_e32 v[15:16], v[75:76], v[47:48]
	v_add_f64_e32 v[19:20], v[77:78], v[49:50]
	v_add_f64_e32 v[21:22], v[35:36], v[41:42]
	v_add_f64_e32 v[23:24], v[59:60], v[43:44]
	v_add_f64_e64 v[25:26], v[33:34], -v[29:30]
	v_add_f64_e64 v[27:28], v[73:74], -v[45:46]
	;; [unrolled: 1-line block ×8, first 2 shown]
	v_lshrrev_b16 v71, 11, v52
	v_mul_lo_u16 v41, 0xcd, v55
	s_delay_alu instid0(VALU_DEP_2) | instskip(NEXT) | instid1(VALU_DEP_2)
	v_mul_lo_u16 v42, v71, 10
	v_lshrrev_b16 v144, 11, v41
	v_mul_lo_u16 v41, v0, 10
	s_delay_alu instid0(VALU_DEP_3) | instskip(NEXT) | instid1(VALU_DEP_3)
	v_sub_nc_u16 v42, v0, v42
	v_mul_lo_u16 v43, v144, 10
	s_delay_alu instid0(VALU_DEP_3) | instskip(NEXT) | instid1(VALU_DEP_3)
	v_and_b32_e32 v41, 0xffff, v41
	v_and_b32_e32 v145, 0xff, v42
	s_delay_alu instid0(VALU_DEP_3) | instskip(NEXT) | instid1(VALU_DEP_3)
	v_sub_nc_u16 v42, v51, v43
	v_lshlrev_b32_e32 v178, 4, v41
	ds_store_b128 v178, v[1:4]
	ds_store_b128 v178, v[9:12] offset:16
	ds_store_b128 v178, v[13:16] offset:32
	;; [unrolled: 1-line block ×9, first 2 shown]
	v_and_b32_e32 v146, 0xff, v42
	v_lshlrev_b32_e32 v41, 6, v145
	global_wb scope:SCOPE_SE
	s_wait_dscnt 0x0
	s_barrier_signal -1
	s_barrier_wait -1
	v_lshlrev_b32_e32 v1, 6, v146
	global_inv scope:SCOPE_SE
	s_clause 0x7
	global_load_b128 v[84:87], v41, s[10:11]
	global_load_b128 v[76:79], v41, s[10:11] offset:16
	global_load_b128 v[72:75], v41, s[10:11] offset:32
	;; [unrolled: 1-line block ×3, first 2 shown]
	global_load_b128 v[92:95], v1, s[10:11]
	global_load_b128 v[104:107], v1, s[10:11] offset:16
	global_load_b128 v[100:103], v1, s[10:11] offset:32
	;; [unrolled: 1-line block ×3, first 2 shown]
	ds_load_b128 v[1:4], v255 offset:2720
	ds_load_b128 v[5:8], v255 offset:5440
	;; [unrolled: 1-line block ×8, first 2 shown]
	s_wait_loadcnt_dscnt 0x707
	v_mul_f64_e32 v[33:34], v[3:4], v[86:87]
	s_wait_loadcnt_dscnt 0x606
	v_mul_f64_e32 v[35:36], v[7:8], v[78:79]
	;; [unrolled: 2-line block ×3, first 2 shown]
	v_mul_f64_e32 v[39:40], v[1:2], v[86:87]
	s_wait_loadcnt_dscnt 0x404
	v_mul_f64_e32 v[41:42], v[15:16], v[82:83]
	v_mul_f64_e32 v[43:44], v[5:6], v[78:79]
	;; [unrolled: 1-line block ×4, first 2 shown]
	s_wait_loadcnt_dscnt 0x303
	v_mul_f64_e32 v[49:50], v[19:20], v[94:95]
	s_wait_loadcnt_dscnt 0x202
	v_mul_f64_e32 v[51:52], v[23:24], v[106:107]
	;; [unrolled: 2-line block ×3, first 2 shown]
	v_mul_f64_e32 v[55:56], v[21:22], v[106:107]
	s_wait_loadcnt_dscnt 0x0
	v_mul_f64_e32 v[57:58], v[31:32], v[98:99]
	v_mul_f64_e32 v[59:60], v[25:26], v[102:103]
	v_mul_f64_e32 v[61:62], v[17:18], v[94:95]
	v_mul_f64_e32 v[63:64], v[29:30], v[98:99]
	v_fma_f64 v[33:34], v[1:2], v[84:85], -v[33:34]
	v_fma_f64 v[35:36], v[5:6], v[76:77], -v[35:36]
	;; [unrolled: 1-line block ×3, first 2 shown]
	v_fma_f64 v[37:38], v[3:4], v[84:85], v[39:40]
	v_fma_f64 v[13:14], v[13:14], v[80:81], -v[41:42]
	v_fma_f64 v[39:40], v[7:8], v[76:77], v[43:44]
	v_fma_f64 v[11:12], v[11:12], v[72:73], v[45:46]
	;; [unrolled: 1-line block ×3, first 2 shown]
	v_fma_f64 v[17:18], v[17:18], v[92:93], -v[49:50]
	v_fma_f64 v[21:22], v[21:22], v[104:105], -v[51:52]
	;; [unrolled: 1-line block ×3, first 2 shown]
	v_fma_f64 v[23:24], v[23:24], v[104:105], v[55:56]
	v_fma_f64 v[29:30], v[29:30], v[96:97], -v[57:58]
	v_fma_f64 v[27:28], v[27:28], v[100:101], v[59:60]
	v_fma_f64 v[19:20], v[19:20], v[92:93], v[61:62]
	;; [unrolled: 1-line block ×3, first 2 shown]
	ds_load_b128 v[1:4], v255
	ds_load_b128 v[5:8], v255 offset:1360
	global_wb scope:SCOPE_SE
	s_wait_dscnt 0x0
	s_barrier_signal -1
	s_barrier_wait -1
	global_inv scope:SCOPE_SE
	v_add_f64_e32 v[57:58], v[1:2], v[33:34]
	v_add_f64_e32 v[41:42], v[35:36], v[9:10]
	;; [unrolled: 1-line block ×4, first 2 shown]
	v_add_f64_e64 v[69:70], v[33:34], -v[13:14]
	v_add_f64_e32 v[45:46], v[39:40], v[11:12]
	v_add_f64_e32 v[47:48], v[37:38], v[15:16]
	v_add_f64_e64 v[59:60], v[37:38], -v[15:16]
	v_add_f64_e64 v[61:62], v[39:40], -v[11:12]
	v_add_f64_e32 v[49:50], v[21:22], v[25:26]
	v_add_f64_e32 v[65:66], v[5:6], v[17:18]
	;; [unrolled: 1-line block ×6, first 2 shown]
	v_add_f64_e64 v[88:89], v[19:20], -v[31:32]
	v_add_f64_e64 v[90:91], v[17:18], -v[29:30]
	;; [unrolled: 1-line block ×16, first 2 shown]
	v_fma_f64 v[41:42], v[41:42], -0.5, v[1:2]
	v_add_f64_e32 v[39:40], v[63:64], v[39:40]
	v_fma_f64 v[1:2], v[43:44], -0.5, v[1:2]
	v_add_f64_e64 v[43:44], v[35:36], -v[9:10]
	v_fma_f64 v[45:46], v[45:46], -0.5, v[3:4]
	v_fma_f64 v[3:4], v[47:48], -0.5, v[3:4]
	v_add_f64_e64 v[47:48], v[23:24], -v[27:28]
	v_fma_f64 v[49:50], v[49:50], -0.5, v[5:6]
	;; [unrolled: 3-line block ×3, first 2 shown]
	v_fma_f64 v[7:8], v[55:56], -0.5, v[7:8]
	v_add_f64_e64 v[55:56], v[33:34], -v[35:36]
	v_add_f64_e64 v[33:34], v[35:36], -v[33:34]
	v_add_f64_e32 v[35:36], v[57:58], v[35:36]
	v_add_f64_e32 v[21:22], v[65:66], v[21:22]
	;; [unrolled: 1-line block ×6, first 2 shown]
	v_fma_f64 v[57:58], v[59:60], s[12:13], v[41:42]
	v_fma_f64 v[41:42], v[59:60], s[16:17], v[41:42]
	;; [unrolled: 1-line block ×16, first 2 shown]
	v_add_f64_e32 v[108:109], v[55:56], v[108:109]
	v_add_f64_e32 v[33:34], v[33:34], v[110:111]
	;; [unrolled: 1-line block ×9, first 2 shown]
	v_fma_f64 v[25:26], v[61:62], s[2:3], v[57:58]
	v_fma_f64 v[27:28], v[61:62], s[14:15], v[41:42]
	;; [unrolled: 1-line block ×16, first 2 shown]
	s_load_b64 s[2:3], s[0:1], 0x38
	v_add_f64_e32 v[164:165], v[9:10], v[13:14]
	v_add_f64_e32 v[166:167], v[11:12], v[15:16]
	;; [unrolled: 1-line block ×4, first 2 shown]
	v_fma_f64 v[124:125], v[108:109], s[18:19], v[25:26]
	v_fma_f64 v[136:137], v[108:109], s[18:19], v[27:28]
	;; [unrolled: 1-line block ×16, first 2 shown]
	v_and_b32_e32 v1, 0xffff, v71
	v_and_b32_e32 v2, 0xffff, v144
	v_add_co_u32 v68, s0, s8, v255
	s_wait_alu 0xf1ff
	v_add_co_ci_u32_e64 v69, null, s9, 0, s0
	v_mul_u32_u24_e32 v0, 50, v1
	v_mul_u32_u24_e32 v1, 50, v2
	s_delay_alu instid0(VALU_DEP_2) | instskip(NEXT) | instid1(VALU_DEP_2)
	v_add_lshl_u32 v121, v0, v145, 4
	v_add_lshl_u32 v120, v1, v146, 4
	ds_store_b128 v121, v[164:167]
	ds_store_b128 v121, v[124:127] offset:160
	ds_store_b128 v121, v[128:131] offset:320
	;; [unrolled: 1-line block ×4, first 2 shown]
	ds_store_b128 v120, v[56:59]
	ds_store_b128 v120, v[64:67] offset:160
	ds_store_b128 v120, v[88:91] offset:320
	;; [unrolled: 1-line block ×4, first 2 shown]
	global_wb scope:SCOPE_SE
	s_wait_dscnt 0x0
	s_wait_kmcnt 0x0
	s_barrier_signal -1
	s_barrier_wait -1
	global_inv scope:SCOPE_SE
                                        ; implicit-def: $vgpr144_vgpr145
	s_and_saveexec_b32 s0, vcc_lo
	s_cbranch_execz .LBB0_3
; %bb.2:
	ds_load_b128 v[164:167], v255
	ds_load_b128 v[124:127], v255 offset:800
	ds_load_b128 v[128:131], v255 offset:1600
	;; [unrolled: 1-line block ×16, first 2 shown]
.LBB0_3:
	s_wait_alu 0xfffe
	s_or_b32 exec_lo, exec_lo, s0
	v_add_co_u32 v0, s0, 0xfffffce0, v255
	s_wait_alu 0xf1ff
	v_add_co_ci_u32_e64 v1, null, 0, -1, s0
	s_mov_b32 s38, 0x5d8e7cdc
	s_delay_alu instid0(VALU_DEP_2) | instskip(SKIP_1) | instid1(VALU_DEP_2)
	v_cndmask_b32_e32 v0, v0, v255, vcc_lo
	s_mov_b32 s39, 0xbfd71e95
	v_cndmask_b32_e64 v1, v1, 0, vcc_lo
	s_mov_b32 s40, 0x2a9d6da3
	s_mov_b32 s41, 0xbfe58eea
	;; [unrolled: 1-line block ×4, first 2 shown]
	v_lshlrev_b64_e32 v[0:1], 4, v[0:1]
	s_mov_b32 s42, 0x7c9e640b
	s_mov_b32 s43, 0xbfeca52d
	;; [unrolled: 1-line block ×5, first 2 shown]
	v_add_co_u32 v0, s0, s10, v0
	s_wait_alu 0xf1ff
	v_add_co_ci_u32_e64 v1, s0, s11, v1, s0
	s_mov_b32 s10, 0x370991
	s_mov_b32 s11, 0x3fedd6d0
	s_mov_b32 s19, 0xbfefdd0d
	s_clause 0x8
	global_load_b128 v[116:119], v[0:1], off offset:640
	global_load_b128 v[26:29], v[0:1], off offset:880
	;; [unrolled: 1-line block ×9, first 2 shown]
	s_mov_b32 s0, 0x3259b75e
	s_mov_b32 s1, 0x3fb79ee6
	;; [unrolled: 1-line block ×33, first 2 shown]
	s_wait_alu 0xfffe
	s_mov_b32 s30, s18
	s_wait_loadcnt_dscnt 0x80f
	v_mul_f64_e32 v[2:3], v[124:125], v[118:119]
	v_mul_f64_e32 v[4:5], v[126:127], v[118:119]
	s_wait_loadcnt_dscnt 0x700
	v_mul_f64_e32 v[6:7], v[172:173], v[28:29]
	v_mul_f64_e32 v[8:9], v[174:175], v[28:29]
	s_wait_loadcnt 0x6
	scratch_store_b128 off, v[18:21], off offset:220 ; 16-byte Folded Spill
	s_wait_loadcnt 0x5
	scratch_store_b128 off, v[22:25], off offset:236 ; 16-byte Folded Spill
	;; [unrolled: 2-line block ×3, first 2 shown]
	s_wait_loadcnt 0x3
	s_clause 0x1
	scratch_store_b128 off, v[34:37], off offset:316
	scratch_store_b128 off, v[26:29], off offset:252
	s_wait_loadcnt 0x0
	s_clause 0x2
	scratch_store_b128 off, v[30:33], off offset:268
	scratch_store_b128 off, v[10:13], off offset:188
	;; [unrolled: 1-line block ×3, first 2 shown]
	v_fma_f64 v[114:115], v[126:127], v[116:117], v[2:3]
	v_fma_f64 v[112:113], v[124:125], v[116:117], -v[4:5]
	v_mul_f64_e32 v[2:3], v[130:131], v[20:21]
	v_mul_f64_e32 v[4:5], v[128:129], v[20:21]
	v_fma_f64 v[126:127], v[174:175], v[26:27], v[6:7]
	v_fma_f64 v[70:71], v[172:173], v[26:27], -v[8:9]
	v_mul_f64_e32 v[6:7], v[168:169], v[24:25]
	v_mul_f64_e32 v[8:9], v[170:171], v[24:25]
	v_fma_f64 v[40:41], v[128:129], v[18:19], -v[2:3]
	v_fma_f64 v[42:43], v[130:131], v[18:19], v[4:5]
	v_mul_f64_e32 v[2:3], v[134:135], v[48:49]
	v_mul_f64_e32 v[4:5], v[132:133], v[48:49]
	v_fma_f64 v[20:21], v[170:171], v[22:23], v[6:7]
	v_fma_f64 v[18:19], v[168:169], v[22:23], -v[8:9]
	v_mul_f64_e32 v[6:7], v[162:163], v[36:37]
	v_mul_f64_e32 v[8:9], v[160:161], v[36:37]
	v_add_f64_e64 v[38:39], v[114:115], -v[126:127]
	v_add_f64_e32 v[209:210], v[114:115], v[126:127]
	v_fma_f64 v[44:45], v[132:133], v[46:47], -v[2:3]
	v_fma_f64 v[46:47], v[134:135], v[46:47], v[4:5]
	v_mul_f64_e32 v[2:3], v[138:139], v[12:13]
	v_mul_f64_e32 v[4:5], v[136:137], v[12:13]
	v_fma_f64 v[22:23], v[160:161], v[34:35], -v[6:7]
	v_fma_f64 v[24:25], v[162:163], v[34:35], v[8:9]
	v_mul_f64_e32 v[6:7], v[156:157], v[16:17]
	v_mul_f64_e32 v[8:9], v[158:159], v[16:17]
	v_add_f64_e64 v[247:248], v[40:41], -v[18:19]
	v_mul_f64_e32 v[197:198], s[40:41], v[38:39]
	v_fma_f64 v[48:49], v[136:137], v[10:11], -v[2:3]
	v_fma_f64 v[50:51], v[138:139], v[10:11], v[4:5]
	global_load_b128 v[10:13], v[0:1], off offset:720
	v_mul_f64_e32 v[2:3], v[58:59], v[32:33]
	v_fma_f64 v[26:27], v[158:159], v[14:15], v[6:7]
	v_fma_f64 v[16:17], v[156:157], v[14:15], -v[8:9]
	s_clause 0x1
	global_load_b128 v[203:206], v[0:1], off offset:816
	global_load_b128 v[156:159], v[0:1], off offset:800
	v_mul_f64_e32 v[4:5], v[56:57], v[32:33]
	v_add_f64_e32 v[32:33], v[112:113], v[70:71]
	v_add_f64_e32 v[8:9], v[42:43], v[20:21]
	v_add_f64_e64 v[249:250], v[46:47], -v[24:25]
	v_add_f64_e64 v[225:226], v[44:45], -v[22:23]
	v_mul_f64_e32 v[211:212], s[34:35], v[247:248]
	v_fma_f64 v[108:109], v[56:57], v[30:31], -v[2:3]
	v_add_f64_e64 v[185:186], v[50:51], -v[26:27]
	v_add_f64_e32 v[181:182], v[48:49], v[16:17]
	v_fma_f64 v[110:111], v[58:59], v[30:31], v[4:5]
	v_add_f64_e64 v[58:59], v[112:113], -v[70:71]
	v_mul_f64_e32 v[201:202], s[28:29], v[249:250]
	v_mul_f64_e32 v[14:15], s[42:43], v[225:226]
	;; [unrolled: 1-line block ×10, first 2 shown]
	s_wait_loadcnt 0x2
	scratch_store_b128 off, v[10:13], off offset:284 ; 16-byte Folded Spill
	s_wait_loadcnt 0x1
	v_mul_f64_e32 v[2:3], v[154:155], v[205:206]
	s_delay_alu instid0(VALU_DEP_1) | instskip(SKIP_1) | instid1(VALU_DEP_2)
	v_fma_f64 v[28:29], v[152:153], v[203:204], -v[2:3]
	v_mul_f64_e32 v[2:3], v[152:153], v[205:206]
	v_add_f64_e32 v[231:232], v[108:109], v[28:29]
	s_delay_alu instid0(VALU_DEP_2)
	v_fma_f64 v[30:31], v[154:155], v[203:204], v[2:3]
	s_clause 0x1
	global_load_b128 v[152:155], v[0:1], off offset:736
	global_load_b128 v[4:7], v[0:1], off offset:752
	v_mul_f64_e32 v[2:3], v[64:65], v[12:13]
	v_add_f64_e64 v[189:190], v[108:109], -v[28:29]
	v_add_f64_e64 v[170:171], v[110:111], -v[30:31]
	v_add_f64_e32 v[172:173], v[110:111], v[30:31]
	s_delay_alu instid0(VALU_DEP_4)
	v_fma_f64 v[122:123], v[66:67], v[10:11], v[2:3]
	v_mul_f64_e32 v[2:3], v[66:67], v[12:13]
	v_mul_f64_e32 v[12:13], s[42:43], v[249:250]
	;; [unrolled: 1-line block ×6, first 2 shown]
	v_fma_f64 v[124:125], v[64:65], v[10:11], -v[2:3]
	v_mul_f64_e32 v[10:11], s[40:41], v[247:248]
	s_wait_loadcnt 0x1
	v_mul_f64_e32 v[2:3], v[90:91], v[154:155]
	s_wait_loadcnt 0x0
	scratch_store_b128 off, v[4:7], off offset:300 ; 16-byte Folded Spill
	v_fma_f64 v[66:67], v[88:89], v[152:153], -v[2:3]
	v_mul_f64_e32 v[2:3], v[88:89], v[154:155]
	s_delay_alu instid0(VALU_DEP_1) | instskip(SKIP_2) | instid1(VALU_DEP_2)
	v_fma_f64 v[88:89], v[90:91], v[152:153], v[2:3]
	v_mul_f64_e32 v[2:3], v[142:143], v[6:7]
	v_mul_f64_e32 v[90:91], s[42:43], v[38:39]
	v_fma_f64 v[52:53], v[140:141], v[4:5], -v[2:3]
	v_mul_f64_e32 v[2:3], v[140:141], v[6:7]
	s_delay_alu instid0(VALU_DEP_1) | instskip(SKIP_2) | instid1(VALU_DEP_2)
	v_fma_f64 v[54:55], v[142:143], v[4:5], v[2:3]
	v_mul_f64_e32 v[2:3], v[144:145], v[158:159]
	v_add_f64_e64 v[4:5], v[42:43], -v[20:21]
	v_fma_f64 v[34:35], v[146:147], v[156:157], v[2:3]
	v_mul_f64_e32 v[2:3], v[146:147], v[158:159]
	s_delay_alu instid0(VALU_DEP_3) | instskip(NEXT) | instid1(VALU_DEP_2)
	v_mul_f64_e32 v[6:7], s[40:41], v[4:5]
	v_fma_f64 v[36:37], v[144:145], v[156:157], -v[2:3]
	s_clause 0x1
	global_load_b128 v[140:143], v[0:1], off offset:768
	global_load_b128 v[144:147], v[0:1], off offset:784
	s_clause 0x1
	scratch_store_b64 off, v[6:7], off offset:644
	scratch_store_b64 off, v[112:113], off offset:540
	v_mul_f64_e32 v[112:113], s[50:51], v[247:248]
	v_add_f64_e64 v[183:184], v[124:125], -v[36:37]
	s_delay_alu instid0(VALU_DEP_1) | instskip(SKIP_2) | instid1(VALU_DEP_1)
	v_mul_f64_e32 v[235:236], s[30:31], v[183:184]
	s_wait_loadcnt 0x1
	v_mul_f64_e32 v[0:1], v[62:63], v[142:143]
	v_fma_f64 v[64:65], v[60:61], v[140:141], -v[0:1]
	v_mul_f64_e32 v[0:1], v[60:61], v[142:143]
	s_delay_alu instid0(VALU_DEP_2) | instskip(NEXT) | instid1(VALU_DEP_2)
	v_add_f64_e32 v[223:224], v[52:53], v[64:65]
	v_fma_f64 v[62:63], v[62:63], v[140:141], v[0:1]
	s_wait_loadcnt 0x0
	v_mul_f64_e32 v[0:1], v[150:151], v[146:147]
	v_add_f64_e64 v[174:175], v[52:53], -v[64:65]
	s_delay_alu instid0(VALU_DEP_3) | instskip(NEXT) | instid1(VALU_DEP_3)
	v_add_f64_e64 v[227:228], v[54:55], -v[62:63]
	v_fma_f64 v[56:57], v[148:149], v[144:145], -v[0:1]
	v_mul_f64_e32 v[0:1], v[148:149], v[146:147]
	v_add_f64_e32 v[229:230], v[54:55], v[62:63]
	s_delay_alu instid0(VALU_DEP_3) | instskip(NEXT) | instid1(VALU_DEP_3)
	v_add_f64_e32 v[245:246], v[66:67], v[56:57]
	v_fma_f64 v[60:61], v[150:151], v[144:145], v[0:1]
	v_mul_f64_e32 v[0:1], s[38:39], v[38:39]
	v_add_f64_e64 v[179:180], v[66:67], -v[56:57]
	s_delay_alu instid0(VALU_DEP_3)
	v_add_f64_e64 v[251:252], v[88:89], -v[60:61]
	scratch_store_b64 off, v[0:1], off offset:804 ; 8-byte Folded Spill
	v_fma_f64 v[0:1], v[32:33], s[10:11], v[0:1]
	s_clause 0x1
	scratch_store_b64 off, v[114:115], off offset:572
	scratch_store_b64 off, v[126:127], off offset:812
	v_add_f64_e32 v[253:254], v[88:89], v[60:61]
	v_mul_f64_e32 v[126:127], s[18:19], v[4:5]
	v_mul_f64_e32 v[114:115], s[44:45], v[225:226]
	;; [unrolled: 1-line block ×3, first 2 shown]
	v_add_f64_e32 v[2:3], v[164:165], v[0:1]
	v_add_f64_e32 v[0:1], v[40:41], v[18:19]
	s_delay_alu instid0(VALU_DEP_1) | instskip(NEXT) | instid1(VALU_DEP_1)
	v_fma_f64 v[6:7], v[0:1], s[12:13], v[6:7]
	v_add_f64_e32 v[2:3], v[6:7], v[2:3]
	v_mul_f64_e32 v[6:7], s[38:39], v[58:59]
	scratch_store_b64 off, v[6:7], off offset:892 ; 8-byte Folded Spill
	v_fma_f64 v[6:7], v[209:210], s[10:11], -v[6:7]
	s_clause 0x5
	scratch_store_b64 off, v[18:19], off offset:332
	scratch_store_b64 off, v[40:41], off offset:412
	;; [unrolled: 1-line block ×6, first 2 shown]
	v_fma_f64 v[10:11], v[8:9], s[12:13], -v[10:11]
	s_clause 0x4
	scratch_store_b64 off, v[22:23], off offset:348
	scratch_store_b64 off, v[44:45], off offset:428
	;; [unrolled: 1-line block ×5, first 2 shown]
	v_add_f64_e32 v[6:7], v[166:167], v[6:7]
	s_delay_alu instid0(VALU_DEP_1) | instskip(SKIP_2) | instid1(VALU_DEP_2)
	v_add_f64_e32 v[10:11], v[10:11], v[6:7]
	v_add_f64_e32 v[6:7], v[44:45], v[22:23]
	v_add_f64_e64 v[22:23], v[48:49], -v[16:17]
	v_fma_f64 v[12:13], v[6:7], s[16:17], v[12:13]
	s_delay_alu instid0(VALU_DEP_2) | instskip(NEXT) | instid1(VALU_DEP_2)
	v_mul_f64_e32 v[213:214], s[36:37], v[22:23]
	v_add_f64_e32 v[2:3], v[12:13], v[2:3]
	v_add_f64_e32 v[12:13], v[46:47], v[24:25]
	;; [unrolled: 1-line block ×3, first 2 shown]
	v_mul_f64_e32 v[46:47], s[18:19], v[38:39]
	s_delay_alu instid0(VALU_DEP_3) | instskip(NEXT) | instid1(VALU_DEP_1)
	v_fma_f64 v[14:15], v[12:13], s[16:17], -v[14:15]
	v_add_f64_e32 v[10:11], v[14:15], v[10:11]
	v_mul_f64_e32 v[14:15], s[18:19], v[185:186]
	scratch_store_b64 off, v[14:15], off offset:636 ; 8-byte Folded Spill
	v_fma_f64 v[14:15], v[181:182], s[0:1], v[14:15]
	s_clause 0x1
	scratch_store_b64 off, v[16:17], off offset:364
	scratch_store_b64 off, v[48:49], off offset:444
	v_add_f64_e32 v[16:17], v[50:51], v[26:27]
	s_clause 0x1
	scratch_store_b64 off, v[26:27], off offset:372
	scratch_store_b64 off, v[50:51], off offset:452
	v_mul_f64_e32 v[26:27], s[18:19], v[58:59]
	v_mul_f64_e32 v[48:49], s[24:25], v[38:39]
	;; [unrolled: 1-line block ×3, first 2 shown]
	v_add_f64_e32 v[2:3], v[14:15], v[2:3]
	v_mul_f64_e32 v[14:15], s[18:19], v[22:23]
	scratch_store_b64 off, v[14:15], off offset:684 ; 8-byte Folded Spill
	v_fma_f64 v[14:15], v[16:17], s[0:1], -v[14:15]
	s_delay_alu instid0(VALU_DEP_1)
	v_add_f64_e32 v[10:11], v[14:15], v[10:11]
	v_mul_f64_e32 v[14:15], s[24:25], v[170:171]
	scratch_store_b64 off, v[14:15], off offset:628 ; 8-byte Folded Spill
	v_fma_f64 v[14:15], v[231:232], s[20:21], v[14:15]
	s_clause 0x3
	scratch_store_b64 off, v[28:29], off offset:380
	scratch_store_b64 off, v[108:109], off offset:492
	;; [unrolled: 1-line block ×4, first 2 shown]
	v_add_f64_e64 v[30:31], v[122:123], -v[34:35]
	v_mul_f64_e32 v[108:109], s[50:51], v[4:5]
	v_mul_f64_e32 v[110:111], s[44:45], v[249:250]
	;; [unrolled: 1-line block ×3, first 2 shown]
	v_add_f64_e32 v[2:3], v[14:15], v[2:3]
	v_mul_f64_e32 v[14:15], s[24:25], v[189:190]
	v_mul_f64_e32 v[195:196], s[36:37], v[30:31]
	;; [unrolled: 1-line block ×3, first 2 shown]
	scratch_store_b64 off, v[14:15], off offset:724 ; 8-byte Folded Spill
	v_fma_f64 v[14:15], v[172:173], s[20:21], -v[14:15]
	s_delay_alu instid0(VALU_DEP_1)
	v_add_f64_e32 v[10:11], v[14:15], v[10:11]
	v_mul_f64_e32 v[14:15], s[28:29], v[30:31]
	scratch_store_b64 off, v[14:15], off offset:708 ; 8-byte Folded Spill
	v_fma_f64 v[14:15], v[24:25], s[22:23], v[14:15]
	s_clause 0x3
	scratch_store_b64 off, v[36:37], off offset:404
	scratch_store_b64 off, v[124:125], off offset:588
	;; [unrolled: 1-line block ×4, first 2 shown]
	v_add_f64_e32 v[34:35], v[122:123], v[34:35]
	v_mul_f64_e32 v[36:37], s[36:37], v[38:39]
	v_add_f64_e32 v[2:3], v[14:15], v[2:3]
	v_mul_f64_e32 v[14:15], s[28:29], v[183:184]
	scratch_store_b64 off, v[14:15], off offset:732 ; 8-byte Folded Spill
	v_fma_f64 v[14:15], v[34:35], s[22:23], -v[14:15]
	s_delay_alu instid0(VALU_DEP_1)
	v_add_f64_e32 v[10:11], v[14:15], v[10:11]
	v_mul_f64_e32 v[14:15], s[36:37], v[251:252]
	scratch_store_b64 off, v[14:15], off offset:596 ; 8-byte Folded Spill
	v_fma_f64 v[14:15], v[245:246], s[26:27], v[14:15]
	s_clause 0x3
	scratch_store_b64 off, v[56:57], off offset:476
	scratch_store_b64 off, v[66:67], off offset:556
	;; [unrolled: 1-line block ×4, first 2 shown]
	v_mul_f64_e32 v[60:61], s[42:43], v[185:186]
	v_mul_f64_e32 v[66:67], s[30:31], v[30:31]
	;; [unrolled: 1-line block ×4, first 2 shown]
	v_add_f64_e32 v[2:3], v[14:15], v[2:3]
	v_mul_f64_e32 v[14:15], s[36:37], v[179:180]
	scratch_store_b64 off, v[14:15], off offset:612 ; 8-byte Folded Spill
	v_fma_f64 v[14:15], v[253:254], s[26:27], -v[14:15]
	s_delay_alu instid0(VALU_DEP_1)
	v_add_f64_e32 v[10:11], v[14:15], v[10:11]
	v_mul_f64_e32 v[14:15], s[52:53], v[227:228]
	scratch_store_b64 off, v[14:15], off offset:524 ; 8-byte Folded Spill
	v_fma_f64 v[14:15], v[223:224], s[14:15], v[14:15]
	s_clause 0x3
	scratch_store_b64 off, v[52:53], off offset:460
	scratch_store_b64 off, v[64:65], off offset:508
	;; [unrolled: 1-line block ×4, first 2 shown]
	v_mul_f64_e32 v[62:63], s[40:41], v[58:59]
	v_mul_f64_e32 v[52:53], s[42:43], v[189:190]
	;; [unrolled: 1-line block ×4, first 2 shown]
	v_add_f64_e32 v[122:123], v[14:15], v[2:3]
	v_mul_f64_e32 v[2:3], s[52:53], v[174:175]
	v_mul_f64_e32 v[14:15], s[18:19], v[247:248]
	s_clause 0x1
	scratch_store_b64 off, v[2:3], off offset:532
	scratch_store_b64 off, v[14:15], off offset:836
	v_fma_f64 v[2:3], v[229:230], s[14:15], -v[2:3]
	v_fma_f64 v[14:15], v[8:9], s[0:1], -v[14:15]
	s_delay_alu instid0(VALU_DEP_2) | instskip(SKIP_2) | instid1(VALU_DEP_2)
	v_add_f64_e32 v[124:125], v[2:3], v[10:11]
	v_fma_f64 v[2:3], v[32:33], s[12:13], v[197:198]
	v_fma_f64 v[10:11], v[0:1], s[0:1], v[126:127]
	v_add_f64_e32 v[2:3], v[164:165], v[2:3]
	s_delay_alu instid0(VALU_DEP_1) | instskip(SKIP_1) | instid1(VALU_DEP_1)
	v_add_f64_e32 v[2:3], v[10:11], v[2:3]
	v_fma_f64 v[10:11], v[209:210], s[12:13], -v[62:63]
	v_add_f64_e32 v[10:11], v[166:167], v[10:11]
	s_delay_alu instid0(VALU_DEP_1) | instskip(SKIP_1) | instid1(VALU_DEP_1)
	v_add_f64_e32 v[10:11], v[14:15], v[10:11]
	v_fma_f64 v[14:15], v[6:7], s[22:23], v[201:202]
	v_add_f64_e32 v[2:3], v[14:15], v[2:3]
	v_mul_f64_e32 v[14:15], s[28:29], v[225:226]
	scratch_store_b64 off, v[14:15], off offset:876 ; 8-byte Folded Spill
	v_fma_f64 v[14:15], v[12:13], s[22:23], -v[14:15]
	s_delay_alu instid0(VALU_DEP_1) | instskip(SKIP_3) | instid1(VALU_DEP_1)
	v_add_f64_e32 v[10:11], v[14:15], v[10:11]
	v_mul_f64_e32 v[14:15], s[52:53], v[185:186]
	scratch_store_b64 off, v[14:15], off offset:852 ; 8-byte Folded Spill
	v_fma_f64 v[14:15], v[181:182], s[14:15], v[14:15]
	v_add_f64_e32 v[2:3], v[14:15], v[2:3]
	v_mul_f64_e32 v[14:15], s[52:53], v[22:23]
	scratch_store_b64 off, v[14:15], off offset:900 ; 8-byte Folded Spill
	v_fma_f64 v[14:15], v[16:17], s[14:15], -v[14:15]
	s_delay_alu instid0(VALU_DEP_1) | instskip(SKIP_3) | instid1(VALU_DEP_1)
	v_add_f64_e32 v[10:11], v[14:15], v[10:11]
	v_mul_f64_e32 v[14:15], s[50:51], v[170:171]
	scratch_store_b64 off, v[14:15], off offset:884 ; 8-byte Folded Spill
	;; [unrolled: 9-line block ×5, first 2 shown]
	v_fma_f64 v[14:15], v[223:224], s[10:11], v[14:15]
	v_add_f64_e32 v[148:149], v[14:15], v[2:3]
	v_mul_f64_e32 v[2:3], s[48:49], v[174:175]
	v_mul_f64_e32 v[14:15], s[28:29], v[247:248]
	s_clause 0x1
	scratch_store_b64 off, v[2:3], off offset:620
	scratch_store_b64 off, v[14:15], off offset:980
	v_fma_f64 v[2:3], v[229:230], s[10:11], -v[2:3]
	v_fma_f64 v[14:15], v[8:9], s[22:23], -v[14:15]
	s_delay_alu instid0(VALU_DEP_2) | instskip(SKIP_2) | instid1(VALU_DEP_2)
	v_add_f64_e32 v[150:151], v[2:3], v[10:11]
	v_fma_f64 v[2:3], v[32:33], s[16:17], v[90:91]
	v_mul_f64_e32 v[10:11], s[28:29], v[4:5]
	v_add_f64_e32 v[2:3], v[164:165], v[2:3]
	scratch_store_b64 off, v[10:11], off offset:964 ; 8-byte Folded Spill
	v_fma_f64 v[10:11], v[0:1], s[22:23], v[10:11]
	s_delay_alu instid0(VALU_DEP_1) | instskip(SKIP_1) | instid1(VALU_DEP_1)
	v_add_f64_e32 v[2:3], v[10:11], v[2:3]
	v_fma_f64 v[10:11], v[209:210], s[16:17], -v[217:218]
	v_add_f64_e32 v[10:11], v[166:167], v[10:11]
	s_delay_alu instid0(VALU_DEP_1) | instskip(SKIP_3) | instid1(VALU_DEP_1)
	v_add_f64_e32 v[10:11], v[14:15], v[10:11]
	v_mul_f64_e32 v[14:15], s[56:57], v[249:250]
	scratch_store_b64 off, v[14:15], off offset:972 ; 8-byte Folded Spill
	v_fma_f64 v[14:15], v[6:7], s[14:15], v[14:15]
	v_add_f64_e32 v[2:3], v[14:15], v[2:3]
	v_mul_f64_e32 v[14:15], s[56:57], v[225:226]
	scratch_store_b64 off, v[14:15], off offset:996 ; 8-byte Folded Spill
	v_fma_f64 v[14:15], v[12:13], s[14:15], -v[14:15]
	s_delay_alu instid0(VALU_DEP_1) | instskip(SKIP_3) | instid1(VALU_DEP_1)
	v_add_f64_e32 v[10:11], v[14:15], v[10:11]
	v_mul_f64_e32 v[14:15], s[34:35], v[185:186]
	scratch_store_b64 off, v[14:15], off offset:988 ; 8-byte Folded Spill
	v_fma_f64 v[14:15], v[181:182], s[20:21], v[14:15]
	v_add_f64_e32 v[2:3], v[14:15], v[2:3]
	v_mul_f64_e32 v[14:15], s[34:35], v[22:23]
	scratch_store_b64 off, v[14:15], off offset:1012 ; 8-byte Folded Spill
	v_fma_f64 v[14:15], v[16:17], s[20:21], -v[14:15]
	;; [unrolled: 9-line block ×5, first 2 shown]
	s_delay_alu instid0(VALU_DEP_1) | instskip(SKIP_3) | instid1(VALU_DEP_1)
	v_add_f64_e32 v[10:11], v[14:15], v[10:11]
	v_mul_f64_e32 v[14:15], s[36:37], v[227:228]
	scratch_store_b64 off, v[14:15], off offset:676 ; 8-byte Folded Spill
	v_fma_f64 v[14:15], v[223:224], s[26:27], v[14:15]
	v_add_f64_e32 v[128:129], v[14:15], v[2:3]
	v_mul_f64_e32 v[2:3], s[36:37], v[174:175]
	v_mul_f64_e32 v[14:15], s[52:53], v[247:248]
	s_clause 0x1
	scratch_store_b64 off, v[2:3], off offset:716
	scratch_store_b64 off, v[14:15], off offset:1076
	v_fma_f64 v[2:3], v[229:230], s[26:27], -v[2:3]
	v_fma_f64 v[14:15], v[8:9], s[14:15], -v[14:15]
	s_delay_alu instid0(VALU_DEP_2) | instskip(SKIP_2) | instid1(VALU_DEP_2)
	v_add_f64_e32 v[130:131], v[2:3], v[10:11]
	v_fma_f64 v[2:3], v[32:33], s[0:1], v[46:47]
	v_mul_f64_e32 v[10:11], s[52:53], v[4:5]
	v_add_f64_e32 v[2:3], v[164:165], v[2:3]
	scratch_store_b64 off, v[10:11], off offset:1060 ; 8-byte Folded Spill
	v_fma_f64 v[10:11], v[0:1], s[14:15], v[10:11]
	s_delay_alu instid0(VALU_DEP_1) | instskip(SKIP_1) | instid1(VALU_DEP_1)
	v_add_f64_e32 v[2:3], v[10:11], v[2:3]
	v_fma_f64 v[10:11], v[209:210], s[0:1], -v[26:27]
	v_add_f64_e32 v[10:11], v[166:167], v[10:11]
	s_delay_alu instid0(VALU_DEP_1) | instskip(SKIP_3) | instid1(VALU_DEP_1)
	v_add_f64_e32 v[10:11], v[14:15], v[10:11]
	v_mul_f64_e32 v[14:15], s[34:35], v[249:250]
	scratch_store_b64 off, v[14:15], off offset:1068 ; 8-byte Folded Spill
	v_fma_f64 v[14:15], v[6:7], s[20:21], v[14:15]
	v_add_f64_e32 v[2:3], v[14:15], v[2:3]
	v_mul_f64_e32 v[14:15], s[34:35], v[225:226]
	scratch_store_b64 off, v[14:15], off offset:1092 ; 8-byte Folded Spill
	v_fma_f64 v[14:15], v[12:13], s[20:21], -v[14:15]
	s_delay_alu instid0(VALU_DEP_1) | instskip(SKIP_3) | instid1(VALU_DEP_1)
	v_add_f64_e32 v[10:11], v[14:15], v[10:11]
	v_mul_f64_e32 v[14:15], s[48:49], v[185:186]
	scratch_store_b64 off, v[14:15], off offset:1084 ; 8-byte Folded Spill
	v_fma_f64 v[14:15], v[181:182], s[10:11], v[14:15]
	v_add_f64_e32 v[14:15], v[14:15], v[2:3]
	v_mul_f64_e32 v[2:3], s[48:49], v[22:23]
	s_delay_alu instid0(VALU_DEP_1) | instskip(NEXT) | instid1(VALU_DEP_1)
	v_fma_f64 v[18:19], v[16:17], s[10:11], -v[2:3]
	v_add_f64_e32 v[10:11], v[18:19], v[10:11]
	v_mul_f64_e32 v[18:19], s[42:43], v[170:171]
	scratch_store_b64 off, v[18:19], off offset:1100 ; 8-byte Folded Spill
	v_fma_f64 v[18:19], v[231:232], s[16:17], v[18:19]
	s_delay_alu instid0(VALU_DEP_1) | instskip(SKIP_1) | instid1(VALU_DEP_1)
	v_add_f64_e32 v[14:15], v[18:19], v[14:15]
	v_fma_f64 v[18:19], v[172:173], s[16:17], -v[52:53]
	v_add_f64_e32 v[10:11], v[18:19], v[10:11]
	v_fma_f64 v[18:19], v[24:25], s[26:27], v[195:196]
	s_delay_alu instid0(VALU_DEP_1) | instskip(SKIP_1) | instid1(VALU_DEP_1)
	v_add_f64_e32 v[14:15], v[18:19], v[14:15]
	v_fma_f64 v[18:19], v[34:35], s[26:27], -v[54:55]
	v_add_f64_e32 v[10:11], v[18:19], v[10:11]
	v_mul_f64_e32 v[18:19], s[54:55], v[251:252]
	scratch_store_b64 off, v[18:19], off offset:772 ; 8-byte Folded Spill
	v_fma_f64 v[18:19], v[245:246], s[22:23], v[18:19]
	s_delay_alu instid0(VALU_DEP_1) | instskip(SKIP_3) | instid1(VALU_DEP_1)
	v_add_f64_e32 v[14:15], v[18:19], v[14:15]
	v_mul_f64_e32 v[18:19], s[54:55], v[179:180]
	scratch_store_b64 off, v[18:19], off offset:788 ; 8-byte Folded Spill
	v_fma_f64 v[18:19], v[253:254], s[22:23], -v[18:19]
	v_add_f64_e32 v[10:11], v[18:19], v[10:11]
	v_mul_f64_e32 v[18:19], s[44:45], v[227:228]
	scratch_store_b64 off, v[18:19], off offset:748 ; 8-byte Folded Spill
	v_fma_f64 v[18:19], v[223:224], s[12:13], v[18:19]
	s_delay_alu instid0(VALU_DEP_1) | instskip(SKIP_4) | instid1(VALU_DEP_1)
	v_add_f64_e32 v[132:133], v[18:19], v[14:15]
	v_mul_f64_e32 v[14:15], s[44:45], v[174:175]
	v_fma_f64 v[18:19], v[8:9], s[26:27], -v[112:113]
	scratch_store_b64 off, v[14:15], off offset:764 ; 8-byte Folded Spill
	v_fma_f64 v[14:15], v[229:230], s[12:13], -v[14:15]
	v_add_f64_e32 v[134:135], v[14:15], v[10:11]
	v_fma_f64 v[10:11], v[32:33], s[20:21], v[48:49]
	v_fma_f64 v[14:15], v[0:1], s[26:27], v[108:109]
	s_delay_alu instid0(VALU_DEP_2) | instskip(NEXT) | instid1(VALU_DEP_1)
	v_add_f64_e32 v[10:11], v[164:165], v[10:11]
	v_add_f64_e32 v[10:11], v[14:15], v[10:11]
	v_fma_f64 v[14:15], v[209:210], s[20:21], -v[50:51]
	s_delay_alu instid0(VALU_DEP_1) | instskip(NEXT) | instid1(VALU_DEP_1)
	v_add_f64_e32 v[14:15], v[166:167], v[14:15]
	v_add_f64_e32 v[14:15], v[18:19], v[14:15]
	v_fma_f64 v[18:19], v[6:7], s[12:13], v[110:111]
	s_delay_alu instid0(VALU_DEP_1) | instskip(SKIP_1) | instid1(VALU_DEP_1)
	v_add_f64_e32 v[10:11], v[18:19], v[10:11]
	v_fma_f64 v[18:19], v[12:13], s[12:13], -v[114:115]
	v_add_f64_e32 v[14:15], v[18:19], v[14:15]
	v_fma_f64 v[18:19], v[181:182], s[16:17], v[60:61]
	s_delay_alu instid0(VALU_DEP_1) | instskip(SKIP_1) | instid1(VALU_DEP_1)
	v_add_f64_e32 v[10:11], v[18:19], v[10:11]
	v_fma_f64 v[18:19], v[16:17], s[16:17], -v[64:65]
	v_add_f64_e32 v[14:15], v[18:19], v[14:15]
	v_fma_f64 v[18:19], v[231:232], s[14:15], v[207:208]
	s_delay_alu instid0(VALU_DEP_1) | instskip(SKIP_1) | instid1(VALU_DEP_1)
	v_add_f64_e32 v[10:11], v[18:19], v[10:11]
	v_fma_f64 v[18:19], v[172:173], s[14:15], -v[233:234]
	v_add_f64_e32 v[14:15], v[18:19], v[14:15]
	v_fma_f64 v[18:19], v[24:25], s[0:1], v[66:67]
	s_delay_alu instid0(VALU_DEP_1) | instskip(SKIP_1) | instid1(VALU_DEP_1)
	v_add_f64_e32 v[10:11], v[18:19], v[10:11]
	v_fma_f64 v[18:19], v[34:35], s[0:1], -v[235:236]
	v_add_f64_e32 v[14:15], v[18:19], v[14:15]
	v_fma_f64 v[18:19], v[245:246], s[10:11], v[199:200]
	s_delay_alu instid0(VALU_DEP_1) | instskip(SKIP_3) | instid1(VALU_DEP_1)
	v_add_f64_e32 v[10:11], v[18:19], v[10:11]
	v_mul_f64_e32 v[18:19], s[38:39], v[179:180]
	scratch_store_b64 off, v[18:19], off offset:860 ; 8-byte Folded Spill
	v_fma_f64 v[18:19], v[253:254], s[10:11], -v[18:19]
	v_add_f64_e32 v[14:15], v[18:19], v[14:15]
	v_mul_f64_e32 v[18:19], s[28:29], v[227:228]
	scratch_store_b64 off, v[18:19], off offset:780 ; 8-byte Folded Spill
	v_fma_f64 v[18:19], v[223:224], s[22:23], v[18:19]
	s_delay_alu instid0(VALU_DEP_1) | instskip(SKIP_4) | instid1(VALU_DEP_1)
	v_add_f64_e32 v[136:137], v[18:19], v[10:11]
	v_mul_f64_e32 v[10:11], s[28:29], v[174:175]
	v_fma_f64 v[18:19], v[8:9], s[20:21], -v[211:212]
	scratch_store_b64 off, v[10:11], off offset:796 ; 8-byte Folded Spill
	v_fma_f64 v[10:11], v[229:230], s[22:23], -v[10:11]
	v_add_f64_e32 v[138:139], v[10:11], v[14:15]
	v_fma_f64 v[10:11], v[32:33], s[22:23], v[28:29]
	v_fma_f64 v[14:15], v[0:1], s[20:21], v[56:57]
	s_delay_alu instid0(VALU_DEP_2) | instskip(NEXT) | instid1(VALU_DEP_1)
	v_add_f64_e32 v[10:11], v[164:165], v[10:11]
	v_add_f64_e32 v[10:11], v[14:15], v[10:11]
	v_fma_f64 v[14:15], v[209:210], s[22:23], -v[191:192]
	s_delay_alu instid0(VALU_DEP_1) | instskip(NEXT) | instid1(VALU_DEP_1)
	v_add_f64_e32 v[14:15], v[166:167], v[14:15]
	v_add_f64_e32 v[14:15], v[18:19], v[14:15]
	v_fma_f64 v[18:19], v[6:7], s[10:11], v[237:238]
	s_delay_alu instid0(VALU_DEP_1) | instskip(SKIP_1) | instid1(VALU_DEP_1)
	v_add_f64_e32 v[10:11], v[18:19], v[10:11]
	v_fma_f64 v[18:19], v[12:13], s[10:11], -v[239:240]
	v_add_f64_e32 v[14:15], v[18:19], v[14:15]
	v_fma_f64 v[18:19], v[181:182], s[26:27], v[88:89]
	s_delay_alu instid0(VALU_DEP_1) | instskip(SKIP_1) | instid1(VALU_DEP_1)
	v_add_f64_e32 v[10:11], v[18:19], v[10:11]
	v_fma_f64 v[18:19], v[16:17], s[26:27], -v[213:214]
	;; [unrolled: 5-line block ×3, first 2 shown]
	v_add_f64_e32 v[14:15], v[18:19], v[14:15]
	v_fma_f64 v[18:19], v[24:25], s[12:13], v[243:244]
	s_delay_alu instid0(VALU_DEP_1) | instskip(SKIP_1) | instid1(VALU_DEP_1)
	v_add_f64_e32 v[18:19], v[18:19], v[10:11]
	v_mul_f64_e32 v[10:11], s[40:41], v[183:184]
	v_fma_f64 v[20:21], v[34:35], s[12:13], -v[10:11]
	s_delay_alu instid0(VALU_DEP_1) | instskip(SKIP_3) | instid1(VALU_DEP_1)
	v_add_f64_e32 v[14:15], v[20:21], v[14:15]
	v_mul_f64_e32 v[20:21], s[52:53], v[251:252]
	scratch_store_b64 off, v[20:21], off offset:932 ; 8-byte Folded Spill
	v_fma_f64 v[20:21], v[245:246], s[14:15], v[20:21]
	v_add_f64_e32 v[18:19], v[20:21], v[18:19]
	v_mul_f64_e32 v[20:21], s[52:53], v[179:180]
	scratch_store_b64 off, v[20:21], off offset:948 ; 8-byte Folded Spill
	v_fma_f64 v[20:21], v[253:254], s[14:15], -v[20:21]
	s_delay_alu instid0(VALU_DEP_1) | instskip(SKIP_3) | instid1(VALU_DEP_1)
	v_add_f64_e32 v[14:15], v[20:21], v[14:15]
	v_mul_f64_e32 v[20:21], s[46:47], v[227:228]
	scratch_store_b64 off, v[20:21], off offset:844 ; 8-byte Folded Spill
	v_fma_f64 v[20:21], v[223:224], s[16:17], v[20:21]
	v_add_f64_e32 v[40:41], v[20:21], v[18:19]
	v_mul_f64_e32 v[18:19], s[46:47], v[174:175]
	scratch_store_b64 off, v[18:19], off offset:868 ; 8-byte Folded Spill
	v_fma_f64 v[18:19], v[229:230], s[16:17], -v[18:19]
	s_delay_alu instid0(VALU_DEP_1) | instskip(SKIP_4) | instid1(VALU_DEP_1)
	v_add_f64_e32 v[42:43], v[18:19], v[14:15]
	v_fma_f64 v[14:15], v[32:33], s[26:27], v[36:37]
	scratch_store_b128 off, v[40:43], off   ; 16-byte Folded Spill
	v_add_f64_e32 v[18:19], v[164:165], v[14:15]
	v_mul_f64_e32 v[14:15], s[46:47], v[4:5]
	v_fma_f64 v[20:21], v[0:1], s[16:17], v[14:15]
	s_delay_alu instid0(VALU_DEP_1) | instskip(SKIP_1) | instid1(VALU_DEP_1)
	v_add_f64_e32 v[20:21], v[20:21], v[18:19]
	v_fma_f64 v[18:19], v[209:210], s[26:27], -v[193:194]
	v_add_f64_e32 v[40:41], v[166:167], v[18:19]
	v_mul_f64_e32 v[18:19], s[46:47], v[247:248]
	s_delay_alu instid0(VALU_DEP_1) | instskip(NEXT) | instid1(VALU_DEP_1)
	v_fma_f64 v[42:43], v[8:9], s[16:17], -v[18:19]
	v_add_f64_e32 v[40:41], v[42:43], v[40:41]
	v_fma_f64 v[42:43], v[6:7], s[0:1], v[219:220]
	s_delay_alu instid0(VALU_DEP_1) | instskip(SKIP_1) | instid1(VALU_DEP_1)
	v_add_f64_e32 v[20:21], v[42:43], v[20:21]
	v_fma_f64 v[42:43], v[12:13], s[0:1], -v[221:222]
	v_add_f64_e32 v[42:43], v[42:43], v[40:41]
	v_fma_f64 v[40:41], v[181:182], s[22:23], v[176:177]
	s_delay_alu instid0(VALU_DEP_1) | instskip(SKIP_1) | instid1(VALU_DEP_1)
	v_add_f64_e32 v[44:45], v[40:41], v[20:21]
	v_mul_f64_e32 v[40:41], s[54:55], v[22:23]
	v_fma_f64 v[20:21], v[16:17], s[22:23], -v[40:41]
	s_delay_alu instid0(VALU_DEP_1) | instskip(SKIP_1) | instid1(VALU_DEP_1)
	v_add_f64_e32 v[42:43], v[20:21], v[42:43]
	v_mul_f64_e32 v[20:21], s[38:39], v[170:171]
	v_fma_f64 v[160:161], v[231:232], s[10:11], v[20:21]
	s_delay_alu instid0(VALU_DEP_1) | instskip(SKIP_1) | instid1(VALU_DEP_1)
	v_add_f64_e32 v[160:161], v[160:161], v[44:45]
	v_mul_f64_e32 v[44:45], s[38:39], v[189:190]
	v_fma_f64 v[162:163], v[172:173], s[10:11], -v[44:45]
	s_delay_alu instid0(VALU_DEP_1) | instskip(SKIP_1) | instid1(VALU_DEP_1)
	v_add_f64_e32 v[162:163], v[162:163], v[42:43]
	v_mul_f64_e32 v[42:43], s[52:53], v[30:31]
	v_fma_f64 v[187:188], v[24:25], s[14:15], v[42:43]
	s_delay_alu instid0(VALU_DEP_1) | instskip(SKIP_1) | instid1(VALU_DEP_1)
	v_add_f64_e32 v[160:161], v[187:188], v[160:161]
	v_mul_f64_e32 v[187:188], s[52:53], v[183:184]
	v_fma_f64 v[168:169], v[34:35], s[14:15], -v[187:188]
	s_delay_alu instid0(VALU_DEP_1) | instskip(SKIP_3) | instid1(VALU_DEP_1)
	v_add_f64_e32 v[162:163], v[168:169], v[162:163]
	v_mul_f64_e32 v[168:169], s[44:45], v[251:252]
	scratch_store_b64 off, v[168:169], off offset:1036 ; 8-byte Folded Spill
	v_fma_f64 v[168:169], v[245:246], s[12:13], v[168:169]
	v_add_f64_e32 v[160:161], v[168:169], v[160:161]
	v_mul_f64_e32 v[168:169], s[44:45], v[179:180]
	scratch_store_b64 off, v[168:169], off offset:1044 ; 8-byte Folded Spill
	v_fma_f64 v[168:169], v[253:254], s[12:13], -v[168:169]
	s_delay_alu instid0(VALU_DEP_1) | instskip(SKIP_3) | instid1(VALU_DEP_1)
	v_add_f64_e32 v[162:163], v[168:169], v[162:163]
	v_mul_f64_e32 v[168:169], s[24:25], v[227:228]
	scratch_store_b64 off, v[168:169], off offset:940 ; 8-byte Folded Spill
	v_fma_f64 v[168:169], v[223:224], s[20:21], v[168:169]
	v_add_f64_e32 v[160:161], v[168:169], v[160:161]
	v_mul_f64_e32 v[168:169], s[24:25], v[174:175]
	scratch_store_b64 off, v[168:169], off offset:956 ; 8-byte Folded Spill
	v_fma_f64 v[168:169], v[229:230], s[20:21], -v[168:169]
	s_delay_alu instid0(VALU_DEP_1)
	v_add_f64_e32 v[162:163], v[168:169], v[162:163]
	s_and_saveexec_b32 s33, vcc_lo
	s_cbranch_execz .LBB0_5
; %bb.4:
	v_mul_f64_e32 v[168:169], s[14:15], v[209:210]
	s_clause 0x1
	scratch_store_b64 off, v[201:202], off offset:1516
	scratch_store_b64 off, v[199:200], off offset:1452
	v_dual_mov_b32 v200, v127 :: v_dual_mov_b32 v199, v126
	scratch_load_b64 v[126:127], off, off offset:804 th:TH_LOAD_LU ; 8-byte Folded Reload
	v_mul_f64_e32 v[38:39], s[52:53], v[38:39]
	v_mul_f64_e32 v[30:31], s[46:47], v[30:31]
	;; [unrolled: 1-line block ×7, first 2 shown]
	v_fma_f64 v[201:202], v[58:59], s[56:57], v[168:169]
	v_fma_f64 v[58:59], v[58:59], s[52:53], v[168:169]
	v_mul_f64_e32 v[168:169], s[26:27], v[209:210]
	s_delay_alu instid0(VALU_DEP_2) | instskip(NEXT) | instid1(VALU_DEP_2)
	v_add_f64_e32 v[58:59], v[166:167], v[58:59]
	v_add_f64_e32 v[168:169], v[193:194], v[168:169]
	v_mul_f64_e32 v[193:194], s[26:27], v[32:33]
	scratch_store_b64 off, v[68:69], off offset:804 ; 8-byte Folded Spill
	scratch_load_b64 v[68:69], off, off offset:572 th:TH_LOAD_LU ; 8-byte Folded Reload
	scratch_store_b64 off, v[70:71], off offset:572 ; 8-byte Folded Spill
	scratch_load_b64 v[70:71], off, off offset:540 th:TH_LOAD_LU ; 8-byte Folded Reload
	scratch_store_b128 off, v[122:125], off offset:540 ; 16-byte Folded Spill
	scratch_load_b64 v[124:125], off, off offset:716 th:TH_LOAD_LU ; 8-byte Folded Reload
	v_add_f64_e64 v[36:37], v[193:194], -v[36:37]
	v_mul_f64_e32 v[193:194], s[22:23], v[209:210]
	s_delay_alu instid0(VALU_DEP_2) | instskip(NEXT) | instid1(VALU_DEP_2)
	v_add_f64_e32 v[36:37], v[164:165], v[36:37]
	v_add_f64_e32 v[191:192], v[191:192], v[193:194]
	v_mul_f64_e32 v[193:194], s[22:23], v[32:33]
	s_delay_alu instid0(VALU_DEP_1) | instskip(SKIP_1) | instid1(VALU_DEP_2)
	v_add_f64_e64 v[28:29], v[193:194], -v[28:29]
	v_mul_f64_e32 v[193:194], s[20:21], v[209:210]
	v_add_f64_e32 v[28:29], v[164:165], v[28:29]
	s_delay_alu instid0(VALU_DEP_2) | instskip(SKIP_4) | instid1(VALU_DEP_1)
	v_add_f64_e32 v[50:51], v[50:51], v[193:194]
	v_mul_f64_e32 v[193:194], s[20:21], v[32:33]
	scratch_store_b64 off, v[201:202], off offset:1108 ; 8-byte Folded Spill
	v_add_f64_e64 v[48:49], v[193:194], -v[48:49]
	v_mul_f64_e32 v[193:194], s[0:1], v[209:210]
	v_add_f64_e32 v[26:27], v[26:27], v[193:194]
	v_mul_f64_e32 v[193:194], s[0:1], v[32:33]
	s_delay_alu instid0(VALU_DEP_2)
	v_add_f64_e32 v[26:27], v[166:167], v[26:27]
	scratch_store_b64 off, v[28:29], off offset:1308 ; 8-byte Folded Spill
	v_add_f64_e64 v[46:47], v[193:194], -v[46:47]
	v_mul_f64_e32 v[193:194], s[16:17], v[209:210]
	v_add_f64_e32 v[28:29], v[166:167], v[50:51]
	v_mul_f64_e32 v[50:51], s[14:15], v[181:182]
	scratch_store_b64 off, v[26:27], off offset:1332 ; 8-byte Folded Spill
	v_add_f64_e32 v[26:27], v[164:165], v[46:47]
	v_add_f64_e32 v[193:194], v[217:218], v[193:194]
	v_mul_f64_e32 v[217:218], s[16:17], v[32:33]
	scratch_store_b64 off, v[28:29], off offset:1316 ; 8-byte Folded Spill
	v_add_f64_e32 v[28:29], v[164:165], v[48:49]
	v_mul_f64_e32 v[46:47], s[20:21], v[24:25]
	v_mul_f64_e32 v[48:49], s[26:27], v[231:232]
	s_wait_loadcnt 0x2
	v_add_f64_e32 v[68:69], v[166:167], v[68:69]
	s_wait_loadcnt 0x1
	v_add_f64_e32 v[70:71], v[164:165], v[70:71]
	scratch_store_b64 off, v[26:27], off offset:1340 ; 8-byte Folded Spill
	v_add_f64_e32 v[26:27], v[166:167], v[193:194]
	v_add_f64_e64 v[90:91], v[217:218], -v[90:91]
	v_mul_f64_e32 v[217:218], s[12:13], v[209:210]
	v_mul_f64_e32 v[209:210], s[10:11], v[209:210]
	;; [unrolled: 1-line block ×3, first 2 shown]
	scratch_store_b64 off, v[26:27], off offset:1348 ; 8-byte Folded Spill
	v_add_f64_e32 v[26:27], v[164:165], v[90:91]
	v_add_f64_e32 v[62:63], v[62:63], v[217:218]
	v_mul_f64_e32 v[217:218], s[12:13], v[32:33]
	scratch_store_b64 off, v[26:27], off offset:1356 ; 8-byte Folded Spill
	v_add_f64_e32 v[26:27], v[166:167], v[62:63]
	v_add_f64_e64 v[197:198], v[217:218], -v[197:198]
	scratch_load_b64 v[217:218], off, off offset:892 th:TH_LOAD_LU ; 8-byte Folded Reload
	v_mul_f64_e32 v[62:63], s[0:1], v[0:1]
	scratch_store_b64 off, v[26:27], off offset:1364 ; 8-byte Folded Spill
	v_add_f64_e32 v[26:27], v[164:165], v[197:198]
	v_mul_f64_e32 v[197:198], s[10:11], v[245:246]
	v_add_f64_e64 v[62:63], v[62:63], -v[199:200]
	v_mul_f64_e32 v[199:200], s[0:1], v[229:230]
	scratch_store_b64 off, v[26:27], off offset:1372 ; 8-byte Folded Spill
	v_fma_f64 v[201:202], v[174:175], s[18:19], v[199:200]
	v_fma_f64 v[174:175], v[174:175], s[30:31], v[199:200]
	v_mul_f64_e32 v[199:200], s[20:21], v[229:230]
	s_wait_loadcnt 0x0
	v_add_f64_e32 v[209:210], v[217:218], v[209:210]
	v_fma_f64 v[217:218], v[32:33], s[14:15], v[38:39]
	v_fma_f64 v[38:39], v[32:33], s[14:15], -v[38:39]
	v_mul_f64_e32 v[32:33], s[10:11], v[32:33]
	s_delay_alu instid0(VALU_DEP_4) | instskip(SKIP_1) | instid1(VALU_DEP_4)
	v_add_f64_e32 v[26:27], v[166:167], v[209:210]
	v_mul_f64_e32 v[209:210], s[10:11], v[181:182]
	v_add_f64_e32 v[38:39], v[164:165], v[38:39]
	s_delay_alu instid0(VALU_DEP_4)
	v_add_f64_e64 v[32:33], v[32:33], -v[126:127]
	scratch_load_b64 v[126:127], off, off offset:1108 th:TH_LOAD_LU ; 8-byte Folded Reload
	scratch_store_b64 off, v[26:27], off offset:1380 ; 8-byte Folded Spill
	v_add_f64_e32 v[26:27], v[164:165], v[32:33]
	v_mul_f64_e32 v[32:33], s[14:15], v[16:17]
	scratch_store_b64 off, v[26:27], off offset:1388 ; 8-byte Folded Spill
	s_wait_loadcnt 0x0
	v_add_f64_e32 v[126:127], v[166:167], v[126:127]
	scratch_store_b64 off, v[126:127], off offset:1252 ; 8-byte Folded Spill
	v_add_f64_e32 v[126:127], v[164:165], v[217:218]
	v_mul_f64_e32 v[164:165], s[16:17], v[34:35]
	v_mul_f64_e32 v[217:218], s[22:23], v[253:254]
	s_delay_alu instid0(VALU_DEP_2)
	v_fma_f64 v[26:27], v[183:184], s[42:43], v[164:165]
	scratch_store_b64 off, v[26:27], off offset:1108 ; 8-byte Folded Spill
	v_fma_f64 v[26:27], v[183:184], s[46:47], v[164:165]
	v_mul_f64_e32 v[183:184], s[22:23], v[172:173]
	v_mul_f64_e32 v[164:165], s[22:23], v[8:9]
	scratch_store_b64 off, v[26:27], off offset:892 ; 8-byte Folded Spill
	v_fma_f64 v[26:27], v[189:190], s[54:55], v[183:184]
	scratch_store_b64 off, v[26:27], off offset:1140 ; 8-byte Folded Spill
	v_fma_f64 v[26:27], v[189:190], s[28:29], v[183:184]
	v_mul_f64_e32 v[189:190], s[12:13], v[16:17]
	v_mul_f64_e32 v[183:184], s[20:21], v[16:17]
	scratch_store_b64 off, v[26:27], off offset:1132 ; 8-byte Folded Spill
	v_fma_f64 v[26:27], v[22:23], s[40:41], v[189:190]
	v_fma_f64 v[22:23], v[22:23], s[44:45], v[189:190]
	v_mul_f64_e32 v[189:190], s[26:27], v[12:13]
	scratch_store_b64 off, v[22:23], off offset:1180 ; 8-byte Folded Spill
	v_fma_f64 v[22:23], v[225:226], s[50:51], v[189:190]
	scratch_store_b64 off, v[22:23], off offset:1412 ; 8-byte Folded Spill
	v_fma_f64 v[22:23], v[225:226], s[36:37], v[189:190]
	v_mul_f64_e32 v[225:226], s[10:11], v[8:9]
	v_mul_f64_e32 v[189:190], s[0:1], v[245:246]
	scratch_store_b64 off, v[22:23], off offset:1404 ; 8-byte Folded Spill
	v_fma_f64 v[22:23], v[247:248], s[38:39], v[225:226]
	scratch_store_b64 off, v[22:23], off offset:1492 ; 8-byte Folded Spill
	v_fma_f64 v[22:23], v[247:248], s[48:49], v[225:226]
	v_mul_f64_e32 v[247:248], s[14:15], v[34:35]
	scratch_store_b64 off, v[22:23], off offset:1484 ; 8-byte Folded Spill
	v_add_f64_e32 v[22:23], v[187:188], v[247:248]
	v_mul_f64_e32 v[247:248], s[10:11], v[172:173]
	v_mul_f64_e32 v[187:188], s[26:27], v[24:25]
	scratch_store_b64 off, v[22:23], off offset:1124 ; 8-byte Folded Spill
	v_add_f64_e32 v[22:23], v[44:45], v[247:248]
	v_mul_f64_e32 v[247:248], s[22:23], v[16:17]
	;; [unrolled: 4-line block ×4, first 2 shown]
	v_mul_f64_e32 v[221:222], s[16:17], v[229:230]
	s_delay_alu instid0(VALU_DEP_2) | instskip(SKIP_1) | instid1(VALU_DEP_1)
	v_add_f64_e32 v[90:91], v[18:19], v[247:248]
	v_mul_f64_e32 v[247:248], s[14:15], v[24:25]
	v_add_f64_e64 v[18:19], v[247:248], -v[42:43]
	v_mul_f64_e32 v[247:248], s[10:11], v[231:232]
	scratch_store_b64 off, v[26:27], off offset:1196 ; 8-byte Folded Spill
	v_mul_f64_e32 v[42:43], s[14:15], v[8:9]
	scratch_store_b64 off, v[18:19], off offset:1116 ; 8-byte Folded Spill
	v_add_f64_e64 v[18:19], v[247:248], -v[20:21]
	v_mul_f64_e32 v[247:248], s[22:23], v[181:182]
	v_mul_f64_e32 v[20:21], s[12:13], v[172:173]
	scratch_store_b64 off, v[18:19], off offset:1172 ; 8-byte Folded Spill
	v_add_f64_e64 v[18:19], v[247:248], -v[176:177]
	v_mul_f64_e32 v[247:248], s[0:1], v[6:7]
	v_mul_f64_e32 v[176:177], s[20:21], v[34:35]
	scratch_store_b64 off, v[18:19], off offset:1236 ; 8-byte Folded Spill
	v_add_f64_e64 v[18:19], v[247:248], -v[219:220]
	v_mul_f64_e32 v[247:248], s[16:17], v[0:1]
	v_mul_f64_e32 v[219:220], s[12:13], v[229:230]
	s_delay_alu instid0(VALU_DEP_2) | instskip(SKIP_1) | instid1(VALU_DEP_1)
	v_add_f64_e64 v[26:27], v[247:248], -v[14:15]
	v_mul_f64_e32 v[247:248], s[12:13], v[34:35]
	v_add_f64_e32 v[10:11], v[10:11], v[247:248]
	v_mul_f64_e32 v[247:248], s[0:1], v[172:173]
	s_clause 0x1
	scratch_store_b64 off, v[22:23], off offset:1436
	scratch_store_b64 off, v[10:11], off offset:1148
	v_add_f64_e32 v[10:11], v[215:216], v[247:248]
	v_mul_f64_e32 v[247:248], s[26:27], v[16:17]
	v_mul_f64_e32 v[215:216], s[12:13], v[231:232]
	scratch_store_b64 off, v[10:11], off offset:1212 ; 8-byte Folded Spill
	v_add_f64_e32 v[10:11], v[213:214], v[247:248]
	v_mul_f64_e32 v[247:248], s[10:11], v[12:13]
	v_mul_f64_e32 v[213:214], s[16:17], v[245:246]
	scratch_store_b64 off, v[10:11], off offset:1420 ; 8-byte Folded Spill
	v_add_f64_e32 v[10:11], v[239:240], v[247:248]
	v_mul_f64_e32 v[247:248], s[20:21], v[8:9]
	scratch_store_b64 off, v[10:11], off offset:1500 ; 8-byte Folded Spill
	v_add_f64_e32 v[211:212], v[211:212], v[247:248]
	v_mul_f64_e32 v[247:248], s[12:13], v[24:25]
	s_delay_alu instid0(VALU_DEP_1)
	v_add_f64_e64 v[10:11], v[247:248], -v[243:244]
	v_mul_f64_e32 v[247:248], s[0:1], v[231:232]
	v_mul_f64_e32 v[243:244], s[14:15], v[0:1]
	scratch_store_b64 off, v[10:11], off offset:1156 ; 8-byte Folded Spill
	v_add_f64_e64 v[10:11], v[247:248], -v[241:242]
	v_mul_f64_e32 v[247:248], s[26:27], v[181:182]
	v_mul_f64_e32 v[241:242], s[14:15], v[6:7]
	scratch_store_b64 off, v[10:11], off offset:1228 ; 8-byte Folded Spill
	;; [unrolled: 4-line block ×3, first 2 shown]
	v_add_f64_e64 v[10:11], v[247:248], -v[237:238]
	v_mul_f64_e32 v[247:248], s[20:21], v[0:1]
	v_dual_mov_b32 v240, v155 :: v_dual_mov_b32 v239, v154
	v_dual_mov_b32 v238, v153 :: v_dual_mov_b32 v237, v152
	;; [unrolled: 1-line block ×6, first 2 shown]
	scratch_store_b64 off, v[10:11], off offset:1524 ; 8-byte Folded Spill
	v_add_f64_e64 v[56:57], v[247:248], -v[56:57]
	v_mul_f64_e32 v[247:248], s[0:1], v[34:35]
	s_delay_alu instid0(VALU_DEP_1)
	v_add_f64_e32 v[10:11], v[235:236], v[247:248]
	v_mul_f64_e32 v[247:248], s[14:15], v[172:173]
	v_mul_f64_e32 v[235:236], s[14:15], v[12:13]
	scratch_store_b64 off, v[10:11], off offset:1188 ; 8-byte Folded Spill
	v_add_f64_e32 v[10:11], v[233:234], v[247:248]
	v_mul_f64_e32 v[247:248], s[16:17], v[16:17]
	v_mul_f64_e32 v[233:234], s[22:23], v[245:246]
	scratch_store_b64 off, v[10:11], off offset:1396 ; 8-byte Folded Spill
	v_add_f64_e32 v[10:11], v[64:65], v[247:248]
	v_mul_f64_e32 v[247:248], s[12:13], v[12:13]
	scratch_load_b64 v[64:65], off, off offset:780 th:TH_LOAD_LU ; 8-byte Folded Reload
	scratch_store_b64 off, v[10:11], off offset:1476 ; 8-byte Folded Spill
	v_add_f64_e32 v[225:226], v[114:115], v[247:248]
	v_mul_f64_e32 v[247:248], s[26:27], v[8:9]
	s_delay_alu instid0(VALU_DEP_1)
	v_add_f64_e32 v[22:23], v[112:113], v[247:248]
	v_mul_f64_e32 v[247:248], s[0:1], v[24:25]
	v_dual_mov_b32 v112, v136 :: v_dual_mov_b32 v113, v137
	v_dual_mov_b32 v114, v138 :: v_dual_mov_b32 v115, v139
	;; [unrolled: 1-line block ×6, first 2 shown]
	v_add_f64_e64 v[10:11], v[247:248], -v[66:67]
	v_mul_f64_e32 v[247:248], s[14:15], v[231:232]
	v_mul_f64_e32 v[66:67], s[10:11], v[24:25]
	scratch_store_b64 off, v[10:11], off offset:1204 ; 8-byte Folded Spill
	v_add_f64_e64 v[10:11], v[247:248], -v[207:208]
	v_mul_f64_e32 v[247:248], s[16:17], v[181:182]
	v_mul_f64_e32 v[207:208], s[20:21], v[223:224]
	scratch_store_b64 off, v[10:11], off offset:1428 ; 8-byte Folded Spill
	v_add_f64_e64 v[10:11], v[247:248], -v[60:61]
	v_mul_f64_e32 v[247:248], s[12:13], v[6:7]
	scratch_store_b64 off, v[10:11], off offset:1508 ; 8-byte Folded Spill
	v_add_f64_e64 v[122:123], v[247:248], -v[110:111]
	v_mul_f64_e32 v[247:248], s[26:27], v[0:1]
	v_fma_f64 v[110:111], v[6:7], s[26:27], -v[249:250]
	s_delay_alu instid0(VALU_DEP_2)
	v_add_f64_e64 v[14:15], v[247:248], -v[108:109]
	v_mul_f64_e32 v[247:248], s[26:27], v[34:35]
	v_mul_f64_e32 v[34:35], s[22:23], v[34:35]
	v_fma_f64 v[108:109], v[6:7], s[26:27], v[249:250]
	v_fma_f64 v[249:250], v[181:182], s[12:13], v[185:186]
	v_fma_f64 v[185:186], v[181:182], s[12:13], -v[185:186]
	v_mul_f64_e32 v[181:182], s[0:1], v[181:182]
	v_add_f64_e32 v[10:11], v[54:55], v[247:248]
	v_mul_f64_e32 v[247:248], s[16:17], v[172:173]
	v_mul_f64_e32 v[54:55], s[22:23], v[0:1]
	scratch_store_b64 off, v[10:11], off offset:1244 ; 8-byte Folded Spill
	v_add_f64_e32 v[10:11], v[52:53], v[247:248]
	v_mul_f64_e32 v[247:248], s[10:11], v[16:17]
	scratch_load_b64 v[52:53], off, off offset:796 th:TH_LOAD_LU ; 8-byte Folded Reload
	v_mul_f64_e32 v[16:17], s[0:1], v[16:17]
	v_add_f64_e32 v[2:3], v[2:3], v[247:248]
	v_mul_f64_e32 v[247:248], s[20:21], v[12:13]
	scratch_store_b64 off, v[2:3], off offset:1532 ; 8-byte Folded Spill
	scratch_load_b64 v[2:3], off, off offset:1092 th:TH_LOAD_LU ; 8-byte Folded Reload
	s_wait_loadcnt 0x0
	v_add_f64_e32 v[247:248], v[2:3], v[247:248]
	scratch_load_b64 v[2:3], off, off offset:1076 th:TH_LOAD_LU ; 8-byte Folded Reload
	s_wait_loadcnt 0x0
	v_add_f64_e32 v[42:43], v[2:3], v[42:43]
	v_add_f64_e64 v[2:3], v[187:188], -v[195:196]
	scratch_store_b64 off, v[10:11], off offset:1460 ; 8-byte Folded Spill
	v_mul_f64_e32 v[195:196], s[16:17], v[231:232]
	v_mul_f64_e32 v[10:11], s[20:21], v[6:7]
	;; [unrolled: 1-line block ×3, first 2 shown]
	scratch_store_b64 off, v[2:3], off offset:1076 ; 8-byte Folded Spill
	scratch_load_b64 v[2:3], off, off offset:1100 th:TH_LOAD_LU ; 8-byte Folded Reload
	s_wait_loadcnt 0x0
	v_add_f64_e64 v[2:3], v[195:196], -v[2:3]
	s_clause 0x1
	scratch_store_b64 off, v[18:19], off offset:1468
	scratch_store_b64 off, v[2:3], off offset:1092
	scratch_load_b64 v[2:3], off, off offset:1084 th:TH_LOAD_LU ; 8-byte Folded Reload
	s_wait_loadcnt 0x0
	v_add_f64_e64 v[209:210], v[209:210], -v[2:3]
	scratch_load_b64 v[2:3], off, off offset:1068 th:TH_LOAD_LU ; 8-byte Folded Reload
	s_wait_loadcnt 0x0
	v_add_f64_e64 v[18:19], v[10:11], -v[2:3]
	s_clause 0x1
	scratch_load_b64 v[2:3], off, off offset:1060 th:TH_LOAD_LU
	scratch_load_b64 v[10:11], off, off offset:644 th:TH_LOAD_LU
	s_wait_loadcnt 0x1
	v_add_f64_e64 v[243:244], v[243:244], -v[2:3]
	scratch_load_b64 v[2:3], off, off offset:1052 th:TH_LOAD_LU ; 8-byte Folded Reload
	s_wait_loadcnt 0x0
	v_add_f64_e32 v[2:3], v[2:3], v[44:45]
	scratch_store_b64 off, v[28:29], off offset:1324 ; 8-byte Folded Spill
	v_mul_f64_e32 v[28:29], s[26:27], v[172:173]
	v_mul_f64_e32 v[172:173], s[20:21], v[172:173]
	scratch_load_b64 v[44:45], off, off offset:1044 th:TH_LOAD_LU ; 8-byte Folded Reload
	scratch_store_b64 off, v[2:3], off offset:1052 ; 8-byte Folded Spill
	scratch_load_b64 v[2:3], off, off offset:1028 th:TH_LOAD_LU ; 8-byte Folded Reload
	s_wait_loadcnt 0x0
	v_add_f64_e32 v[2:3], v[2:3], v[20:21]
	scratch_store_b64 off, v[36:37], off offset:1292 ; 8-byte Folded Spill
	v_add_f64_e32 v[36:37], v[166:167], v[191:192]
	scratch_store_b64 off, v[58:59], off offset:1268 ; 8-byte Folded Spill
	v_mul_f64_e32 v[58:59], s[22:23], v[6:7]
	v_mul_f64_e32 v[6:7], s[16:17], v[6:7]
	v_fma_f64 v[20:21], v[231:232], s[22:23], -v[170:171]
	v_mul_f64_e32 v[191:192], s[14:15], v[245:246]
	scratch_store_b64 off, v[2:3], off offset:1028 ; 8-byte Folded Spill
	scratch_load_b64 v[2:3], off, off offset:1012 th:TH_LOAD_LU ; 8-byte Folded Reload
	scratch_store_b64 off, v[36:37], off offset:1300 ; 8-byte Folded Spill
	v_mul_f64_e32 v[36:37], s[22:23], v[12:13]
	v_mul_f64_e32 v[12:13], s[16:17], v[12:13]
	s_wait_loadcnt 0x0
	v_add_f64_e32 v[60:61], v[2:3], v[183:184]
	scratch_load_b64 v[2:3], off, off offset:996 th:TH_LOAD_LU ; 8-byte Folded Reload
	s_wait_loadcnt 0x0
	v_add_f64_e32 v[235:236], v[2:3], v[235:236]
	scratch_load_b64 v[2:3], off, off offset:980 th:TH_LOAD_LU ; 8-byte Folded Reload
	;; [unrolled: 3-line block ×3, first 2 shown]
	s_wait_loadcnt 0x0
	v_add_f64_e64 v[2:3], v[66:67], -v[2:3]
	scratch_store_b64 off, v[38:39], off offset:1276 ; 8-byte Folded Spill
	v_add_f64_e32 v[38:39], v[166:167], v[168:169]
	v_mul_f64_e32 v[168:169], s[14:15], v[253:254]
	v_mul_f64_e32 v[166:167], s[16:17], v[253:254]
	;; [unrolled: 1-line block ×3, first 2 shown]
	scratch_store_b64 off, v[2:3], off offset:980 ; 8-byte Folded Spill
	scratch_load_b64 v[2:3], off, off offset:1004 th:TH_LOAD_LU ; 8-byte Folded Reload
	s_wait_loadcnt 0x0
	v_add_f64_e64 v[2:3], v[215:216], -v[2:3]
	scratch_store_b64 off, v[38:39], off offset:1284 ; 8-byte Folded Spill
	v_mul_f64_e32 v[38:39], s[0:1], v[8:9]
	v_mul_f64_e32 v[8:9], s[12:13], v[8:9]
	scratch_store_b64 off, v[2:3], off offset:996 ; 8-byte Folded Spill
	scratch_load_b64 v[2:3], off, off offset:988 th:TH_LOAD_LU ; 8-byte Folded Reload
	s_wait_loadcnt 0x0
	v_add_f64_e64 v[40:41], v[40:41], -v[2:3]
	scratch_load_b64 v[2:3], off, off offset:972 th:TH_LOAD_LU ; 8-byte Folded Reload
	s_wait_loadcnt 0x0
	v_add_f64_e64 v[241:242], v[241:242], -v[2:3]
	;; [unrolled: 3-line block ×3, first 2 shown]
	scratch_load_b64 v[2:3], off, off offset:924 th:TH_LOAD_LU ; 8-byte Folded Reload
	s_wait_loadcnt 0x0
	v_add_f64_e32 v[176:177], v[2:3], v[176:177]
	scratch_load_b64 v[2:3], off, off offset:916 th:TH_LOAD_LU ; 8-byte Folded Reload
	s_wait_loadcnt 0x0
	v_add_f64_e32 v[28:29], v[2:3], v[28:29]
	;; [unrolled: 3-line block ×5, first 2 shown]
	scratch_load_b64 v[2:3], off, off offset:908 th:TH_LOAD_LU ; 8-byte Folded Reload
	s_wait_loadcnt 0x0
	v_add_f64_e64 v[2:3], v[46:47], -v[2:3]
	s_clause 0x1
	scratch_store_b64 off, v[126:127], off offset:1260
	scratch_store_b64 off, v[2:3], off offset:836
	scratch_load_b64 v[2:3], off, off offset:884 th:TH_LOAD_LU ; 8-byte Folded Reload
	s_wait_loadcnt 0x0
	v_add_f64_e64 v[48:49], v[48:49], -v[2:3]
	scratch_load_b64 v[2:3], off, off offset:852 th:TH_LOAD_LU ; 8-byte Folded Reload
	s_wait_loadcnt 0x0
	v_add_f64_e64 v[50:51], v[50:51], -v[2:3]
	;; [unrolled: 3-line block ×3, first 2 shown]
	scratch_load_b64 v[2:3], off, off offset:420 th:TH_LOAD_LU ; 8-byte Folded Reload
	s_wait_loadcnt 0x0
	v_add_f64_e32 v[68:69], v[68:69], v[2:3]
	scratch_load_b64 v[2:3], off, off offset:412 th:TH_LOAD_LU ; 8-byte Folded Reload
	s_wait_loadcnt 0x0
	v_add_f64_e32 v[70:71], v[70:71], v[2:3]
	;; [unrolled: 3-line block ×3, first 2 shown]
	scratch_load_b64 v[2:3], off, off offset:436 th:TH_LOAD_LU ; 8-byte Folded Reload
	v_fma_f64 v[34:35], v[24:25], s[16:17], v[30:31]
	v_fma_f64 v[30:31], v[24:25], s[16:17], -v[30:31]
	v_mul_f64_e32 v[24:25], s[22:23], v[24:25]
	s_wait_loadcnt 0x0
	v_add_f64_e32 v[68:69], v[68:69], v[2:3]
	scratch_load_b64 v[2:3], off, off offset:428 th:TH_LOAD_LU ; 8-byte Folded Reload
	s_wait_loadcnt 0x0
	v_add_f64_e32 v[70:71], v[70:71], v[2:3]
	scratch_load_b64 v[2:3], off, off offset:724 th:TH_LOAD_LU ; 8-byte Folded Reload
	;; [unrolled: 3-line block ×12, first 2 shown]
	s_wait_loadcnt 0x0
	v_add_f64_e64 v[183:184], v[24:25], -v[2:3]
	v_fma_f64 v[2:3], v[0:1], s[10:11], v[4:5]
	v_fma_f64 v[4:5], v[0:1], s[10:11], -v[4:5]
	v_mul_f64_e32 v[0:1], s[12:13], v[0:1]
	scratch_load_b64 v[24:25], off, off offset:628 th:TH_LOAD_LU ; 8-byte Folded Reload
	v_add_f64_e64 v[0:1], v[0:1], -v[10:11]
	scratch_load_b64 v[10:11], off, off offset:652 th:TH_LOAD_LU ; 8-byte Folded Reload
	s_wait_loadcnt 0x0
	v_add_f64_e64 v[6:7], v[6:7], -v[10:11]
	scratch_load_b64 v[10:11], off, off offset:564 th:TH_LOAD_LU ; 8-byte Folded Reload
	s_wait_loadcnt 0x0
	v_add_f64_e32 v[68:69], v[68:69], v[10:11]
	scratch_load_b64 v[10:11], off, off offset:556 th:TH_LOAD_LU ; 8-byte Folded Reload
	s_wait_loadcnt 0x0
	v_add_f64_e32 v[70:71], v[70:71], v[10:11]
	scratch_load_b64 v[10:11], off, off offset:636 th:TH_LOAD_LU ; 8-byte Folded Reload
	s_wait_loadcnt 0x0
	v_add_f64_e64 v[181:182], v[181:182], -v[10:11]
	v_fma_f64 v[10:11], v[231:232], s[22:23], v[170:171]
	v_mul_f64_e32 v[170:171], s[20:21], v[231:232]
	v_mul_f64_e32 v[231:232], s[20:21], v[253:254]
	s_delay_alu instid0(VALU_DEP_2) | instskip(SKIP_1) | instid1(VALU_DEP_3)
	v_add_f64_e64 v[24:25], v[170:171], -v[24:25]
	v_dual_mov_b32 v173, v163 :: v_dual_mov_b32 v172, v162
	v_fma_f64 v[126:127], v[179:180], s[34:35], v[231:232]
	v_dual_mov_b32 v171, v161 :: v_dual_mov_b32 v170, v160
	v_fma_f64 v[162:163], v[179:180], s[24:25], v[231:232]
	v_mul_f64_e32 v[179:180], s[12:13], v[253:254]
	v_mul_f64_e32 v[231:232], s[12:13], v[245:246]
	v_mul_f64_e32 v[253:254], s[26:27], v[253:254]
	v_fma_f64 v[160:161], v[245:246], s[20:21], v[251:252]
	v_fma_f64 v[251:252], v[245:246], s[20:21], -v[251:252]
	v_mul_f64_e32 v[245:246], s[26:27], v[245:246]
	v_add_f64_e32 v[179:180], v[44:45], v[179:180]
	scratch_load_b64 v[44:45], off, off offset:1036 th:TH_LOAD_LU ; 8-byte Folded Reload
	s_wait_loadcnt 0x0
	v_add_f64_e64 v[231:232], v[231:232], -v[44:45]
	scratch_load_b64 v[44:45], off, off offset:948 th:TH_LOAD_LU ; 8-byte Folded Reload
	s_wait_loadcnt 0x0
	v_add_f64_e32 v[168:169], v[44:45], v[168:169]
	scratch_load_b64 v[44:45], off, off offset:932 th:TH_LOAD_LU ; 8-byte Folded Reload
	s_wait_loadcnt 0x0
	v_add_f64_e64 v[191:192], v[191:192], -v[44:45]
	scratch_load_b64 v[44:45], off, off offset:860 th:TH_LOAD_LU ; 8-byte Folded Reload
	s_wait_loadcnt 0x0
	;; [unrolled: 6-line block ×6, first 2 shown]
	v_add_f64_e32 v[253:254], v[44:45], v[253:254]
	scratch_load_b64 v[44:45], off, off offset:468 th:TH_LOAD_LU ; 8-byte Folded Reload
	s_wait_loadcnt 0x0
	v_add_f64_e32 v[68:69], v[68:69], v[44:45]
	scratch_load_b64 v[44:45], off, off offset:460 th:TH_LOAD_LU ; 8-byte Folded Reload
	s_wait_loadcnt 0x0
	;; [unrolled: 3-line block ×3, first 2 shown]
	v_add_f64_e64 v[245:246], v[245:246], -v[44:45]
	scratch_load_b64 v[44:45], off, off offset:956 th:TH_LOAD_LU ; 8-byte Folded Reload
	s_wait_loadcnt 0x0
	v_add_f64_e32 v[199:200], v[44:45], v[199:200]
	scratch_load_b64 v[44:45], off, off offset:940 th:TH_LOAD_LU ; 8-byte Folded Reload
	s_wait_loadcnt 0x0
	v_add_f64_e64 v[207:208], v[207:208], -v[44:45]
	scratch_load_b64 v[44:45], off, off offset:868 th:TH_LOAD_LU ; 8-byte Folded Reload
	s_wait_loadcnt 0x0
	v_add_f64_e32 v[221:222], v[44:45], v[221:222]
	scratch_load_b64 v[44:45], off, off offset:844 th:TH_LOAD_LU ; 8-byte Folded Reload
	s_wait_loadcnt 0x0
	v_add_f64_e64 v[88:89], v[88:89], -v[44:45]
	v_mul_f64_e32 v[44:45], s[22:23], v[229:230]
	s_delay_alu instid0(VALU_DEP_1) | instskip(SKIP_1) | instid1(VALU_DEP_1)
	v_add_f64_e32 v[44:45], v[52:53], v[44:45]
	v_mul_f64_e32 v[52:53], s[22:23], v[223:224]
	v_add_f64_e64 v[52:53], v[52:53], -v[64:65]
	scratch_load_b64 v[64:65], off, off offset:764 th:TH_LOAD_LU ; 8-byte Folded Reload
	s_wait_loadcnt 0x0
	v_add_f64_e32 v[219:220], v[64:65], v[219:220]
	scratch_load_b64 v[64:65], off, off offset:748 th:TH_LOAD_LU ; 8-byte Folded Reload
	s_wait_loadcnt 0x0
	v_add_f64_e64 v[66:67], v[66:67], -v[64:65]
	scratch_load_b64 v[64:65], off, off offset:516 th:TH_LOAD_LU ; 8-byte Folded Reload
	s_wait_loadcnt 0x0
	v_add_f64_e32 v[68:69], v[68:69], v[64:65]
	scratch_load_b64 v[64:65], off, off offset:508 th:TH_LOAD_LU ; 8-byte Folded Reload
	s_wait_loadcnt 0x0
	v_add_f64_e32 v[70:71], v[70:71], v[64:65]
	v_mul_f64_e32 v[64:65], s[26:27], v[229:230]
	s_delay_alu instid0(VALU_DEP_1)
	v_add_f64_e32 v[64:65], v[124:125], v[64:65]
	s_clause 0x1
	scratch_load_b64 v[124:125], off, off offset:1252 th:TH_LOAD_LU
	scratch_load_b64 v[128:129], off, off offset:1492 th:TH_LOAD_LU
	s_wait_loadcnt 0x0
	v_add_f64_e32 v[124:125], v[128:129], v[124:125]
	scratch_load_b64 v[128:129], off, off offset:1260 th:TH_LOAD_LU ; 8-byte Folded Reload
	s_wait_loadcnt 0x0
	v_add_f64_e32 v[2:3], v[2:3], v[128:129]
	s_clause 0x2
	scratch_load_b64 v[128:129], off, off offset:1268 th:TH_LOAD_LU
	scratch_load_b64 v[130:131], off, off offset:1484 th:TH_LOAD_LU
	;; [unrolled: 1-line block ×3, first 2 shown]
	ds_store_b128 v255, v[170:173] offset:8000
	v_add_f64_e32 v[2:3], v[108:109], v[2:3]
	scratch_load_b64 v[108:109], off, off offset:1404 th:TH_LOAD_LU ; 8-byte Folded Reload
	v_add_f64_e32 v[2:3], v[249:250], v[2:3]
	s_delay_alu instid0(VALU_DEP_1)
	v_add_f64_e32 v[2:3], v[10:11], v[2:3]
	scratch_load_b64 v[10:11], off, off offset:1132 th:TH_LOAD_LU ; 8-byte Folded Reload
	v_add_f64_e32 v[2:3], v[34:35], v[2:3]
	s_wait_loadcnt 0x3
	v_add_f64_e32 v[148:149], v[130:131], v[128:129]
	scratch_load_b64 v[128:129], off, off offset:1276 th:TH_LOAD_LU ; 8-byte Folded Reload
	s_wait_loadcnt 0x0
	v_add_f64_e32 v[4:5], v[4:5], v[128:129]
	scratch_load_b64 v[128:129], off, off offset:1284 th:TH_LOAD_LU ; 8-byte Folded Reload
	v_add_f64_e32 v[4:5], v[110:111], v[4:5]
	scratch_load_b64 v[110:111], off, off offset:1436 th:TH_LOAD_LU ; 8-byte Folded Reload
	v_add_f64_e32 v[4:5], v[185:186], v[4:5]
	s_delay_alu instid0(VALU_DEP_1) | instskip(NEXT) | instid1(VALU_DEP_1)
	v_add_f64_e32 v[4:5], v[20:21], v[4:5]
	v_add_f64_e32 v[4:5], v[30:31], v[4:5]
	s_delay_alu instid0(VALU_DEP_1)
	v_add_f64_e32 v[4:5], v[251:252], v[4:5]
	s_wait_loadcnt 0x1
	v_add_f64_e32 v[90:91], v[90:91], v[128:129]
	scratch_load_b64 v[128:129], off, off offset:1292 th:TH_LOAD_LU ; 8-byte Folded Reload
	s_wait_loadcnt 0x1
	v_add_f64_e32 v[90:91], v[110:111], v[90:91]
	scratch_load_b64 v[110:111], off, off offset:1468 th:TH_LOAD_LU ; 8-byte Folded Reload
	;; [unrolled: 3-line block ×5, first 2 shown]
	s_wait_loadcnt 0x1
	v_add_f64_e32 v[110:111], v[110:111], v[150:151]
	s_wait_loadcnt 0x0
	v_add_f64_e32 v[56:57], v[56:57], v[128:129]
	scratch_load_b64 v[128:129], off, off offset:1316 th:TH_LOAD_LU ; 8-byte Folded Reload
	s_wait_loadcnt 0x0
	v_add_f64_e32 v[22:23], v[22:23], v[128:129]
	scratch_load_b64 v[128:129], off, off offset:1324 th:TH_LOAD_LU ; 8-byte Folded Reload
	v_add_f64_e32 v[22:23], v[225:226], v[22:23]
	s_wait_loadcnt 0x0
	v_add_f64_e32 v[14:15], v[14:15], v[128:129]
	scratch_load_b64 v[128:129], off, off offset:1332 th:TH_LOAD_LU ; 8-byte Folded Reload
	v_add_f64_e32 v[14:15], v[122:123], v[14:15]
	;; [unrolled: 4-line block ×3, first 2 shown]
	s_wait_loadcnt 0x0
	v_add_f64_e32 v[211:212], v[243:244], v[128:129]
	s_clause 0x1
	scratch_load_b64 v[128:129], off, off offset:1348 th:TH_LOAD_LU
	scratch_load_b64 v[243:244], off, off offset:484 th:TH_LOAD_LU
	v_add_f64_e32 v[18:19], v[18:19], v[211:212]
	s_delay_alu instid0(VALU_DEP_1) | instskip(SKIP_4) | instid1(VALU_DEP_1)
	v_add_f64_e32 v[18:19], v[209:210], v[18:19]
	s_wait_loadcnt 0x1
	v_add_f64_e32 v[164:165], v[164:165], v[128:129]
	scratch_load_b64 v[128:129], off, off offset:1356 th:TH_LOAD_LU ; 8-byte Folded Reload
	v_add_f64_e32 v[122:123], v[235:236], v[164:165]
	v_add_f64_e32 v[60:61], v[60:61], v[122:123]
	s_wait_loadcnt 0x0
	v_add_f64_e32 v[54:55], v[54:55], v[128:129]
	scratch_load_b64 v[128:129], off, off offset:1364 th:TH_LOAD_LU ; 8-byte Folded Reload
	v_add_f64_e32 v[54:55], v[241:242], v[54:55]
	s_delay_alu instid0(VALU_DEP_1) | instskip(SKIP_4) | instid1(VALU_DEP_1)
	v_add_f64_e32 v[40:41], v[40:41], v[54:55]
	s_wait_loadcnt 0x0
	v_add_f64_e32 v[38:39], v[38:39], v[128:129]
	scratch_load_b64 v[128:129], off, off offset:1372 th:TH_LOAD_LU ; 8-byte Folded Reload
	v_add_f64_e32 v[36:37], v[36:37], v[38:39]
	v_add_f64_e32 v[32:33], v[32:33], v[36:37]
	s_delay_alu instid0(VALU_DEP_1) | instskip(NEXT) | instid1(VALU_DEP_1)
	v_add_f64_e32 v[28:29], v[28:29], v[32:33]
	v_add_f64_e32 v[28:29], v[176:177], v[28:29]
	s_delay_alu instid0(VALU_DEP_1)
	v_add_f64_e32 v[28:29], v[166:167], v[28:29]
	s_wait_loadcnt 0x0
	v_add_f64_e32 v[62:63], v[62:63], v[128:129]
	scratch_load_b64 v[128:129], off, off offset:1380 th:TH_LOAD_LU ; 8-byte Folded Reload
	v_add_f64_e32 v[38:39], v[58:59], v[62:63]
	scratch_load_b64 v[62:63], off, off offset:620 th:TH_LOAD_LU ; 8-byte Folded Reload
	v_mul_f64_e32 v[58:59], s[10:11], v[229:230]
	v_add_f64_e32 v[36:37], v[50:51], v[38:39]
	scratch_load_b64 v[38:39], off, off offset:604 th:TH_LOAD_LU ; 8-byte Folded Reload
	v_add_f64_e32 v[32:33], v[48:49], v[36:37]
	s_wait_loadcnt 0x1
	v_add_f64_e32 v[58:59], v[62:63], v[58:59]
	scratch_load_b64 v[62:63], off, off offset:1196 th:TH_LOAD_LU ; 8-byte Folded Reload
	v_add_f64_e32 v[8:9], v[8:9], v[128:129]
	scratch_load_b64 v[128:129], off, off offset:1388 th:TH_LOAD_LU ; 8-byte Folded Reload
	;; [unrolled: 2-line block ×5, first 2 shown]
	v_add_f64_e32 v[8:9], v[46:47], v[8:9]
	s_delay_alu instid0(VALU_DEP_1)
	v_add_f64_e32 v[8:9], v[215:216], v[8:9]
	s_wait_loadcnt 0x3
	v_add_f64_e32 v[0:1], v[0:1], v[128:129]
	scratch_load_b64 v[128:129], off, off offset:1412 th:TH_LOAD_LU ; 8-byte Folded Reload
	v_add_f64_e32 v[0:1], v[6:7], v[0:1]
	scratch_load_b64 v[6:7], off, off offset:396 th:TH_LOAD_LU ; 8-byte Folded Reload
	s_wait_loadcnt 0x3
	v_add_f64_e32 v[70:71], v[70:71], v[243:244]
	v_mul_f64_e32 v[243:244], s[26:27], v[223:224]
	v_add_f64_e32 v[0:1], v[181:182], v[0:1]
	s_delay_alu instid0(VALU_DEP_1)
	v_add_f64_e32 v[0:1], v[24:25], v[0:1]
	scratch_load_b64 v[24:25], off, off offset:1124 th:TH_LOAD_LU ; 8-byte Folded Reload
	v_add_f64_e32 v[0:1], v[183:184], v[0:1]
	s_wait_loadcnt 0x1
	v_add_f64_e32 v[6:7], v[68:69], v[6:7]
	scratch_load_b64 v[68:69], off, off offset:1180 th:TH_LOAD_LU ; 8-byte Folded Reload
	v_add_f64_e32 v[6:7], v[6:7], v[16:17]
	scratch_load_b64 v[16:17], off, off offset:380 th:TH_LOAD_LU ; 8-byte Folded Reload
	;; [unrolled: 2-line block ×3, first 2 shown]
	s_wait_loadcnt 0x1
	v_add_f64_e32 v[12:13], v[12:13], v[16:17]
	v_mul_f64_e32 v[16:17], s[10:11], v[223:224]
	s_wait_loadcnt 0x0
	v_add_f64_e32 v[70:71], v[70:71], v[90:91]
	scratch_load_b64 v[90:91], off, off offset:1236 th:TH_LOAD_LU ; 8-byte Folded Reload
	v_add_f64_e32 v[108:109], v[108:109], v[148:149]
	v_dual_mov_b32 v148, v203 :: v_dual_mov_b32 v149, v204
	v_dual_mov_b32 v150, v205 :: v_dual_mov_b32 v151, v206
	;; [unrolled: 1-line block ×6, first 2 shown]
	v_add_f64_e64 v[16:17], v[16:17], -v[38:39]
	scratch_load_b64 v[38:39], off, off offset:1140 th:TH_LOAD_LU ; 8-byte Folded Reload
	v_add_f64_e32 v[68:69], v[68:69], v[108:109]
	scratch_load_b64 v[108:109], off, off offset:1444 th:TH_LOAD_LU ; 8-byte Folded Reload
	v_add_f64_e32 v[50:51], v[10:11], v[68:69]
	;; [unrolled: 2-line block ×3, first 2 shown]
	s_wait_loadcnt 0x0
	v_add_f64_e32 v[54:55], v[10:11], v[70:71]
	scratch_load_b64 v[10:11], off, off offset:1172 th:TH_LOAD_LU ; 8-byte Folded Reload
	v_add_f64_e32 v[26:27], v[90:91], v[26:27]
	scratch_load_b64 v[90:91], off, off offset:1420 th:TH_LOAD_LU ; 8-byte Folded Reload
	;; [unrolled: 2-line block ×3, first 2 shown]
	v_add_f64_e32 v[30:31], v[24:25], v[54:55]
	s_clause 0x1
	scratch_load_b64 v[24:25], off, off offset:1148 th:TH_LOAD_LU
	scratch_load_b64 v[54:55], off, off offset:524 th:TH_LOAD_LU
	v_add_f64_e32 v[30:31], v[179:180], v[30:31]
	s_wait_loadcnt 0x4
	v_add_f64_e32 v[26:27], v[10:11], v[26:27]
	scratch_load_b64 v[10:11], off, off offset:1212 th:TH_LOAD_LU ; 8-byte Folded Reload
	v_add_f64_e32 v[124:125], v[128:129], v[124:125]
	scratch_load_b64 v[128:129], off, off offset:1524 th:TH_LOAD_LU ; 8-byte Folded Reload
	s_wait_loadcnt 0x5
	v_add_f64_e32 v[90:91], v[90:91], v[110:111]
	v_add_f64_e32 v[62:63], v[62:63], v[124:125]
	scratch_load_b128 v[122:125], off, off offset:540 ; 16-byte Folded Reload
	v_add_f64_e32 v[38:39], v[38:39], v[62:63]
	s_wait_loadcnt 0x2
	v_add_f64_e32 v[62:63], v[10:11], v[90:91]
	scratch_load_b64 v[10:11], off, off offset:1228 th:TH_LOAD_LU ; 8-byte Folded Reload
	s_wait_loadcnt 0x2
	v_add_f64_e32 v[56:57], v[128:129], v[56:57]
	v_dual_mov_b32 v128, v132 :: v_dual_mov_b32 v129, v133
	v_dual_mov_b32 v130, v134 :: v_dual_mov_b32 v131, v135
	;; [unrolled: 1-line block ×6, first 2 shown]
	v_add_f64_e32 v[48:49], v[24:25], v[62:63]
	scratch_load_b64 v[24:25], off, off offset:1188 th:TH_LOAD_LU ; 8-byte Folded Reload
	v_add_f64_e32 v[56:57], v[108:109], v[56:57]
	scratch_load_b64 v[108:109], off, off offset:1476 th:TH_LOAD_LU ; 8-byte Folded Reload
	v_add_f64_e32 v[48:49], v[168:169], v[48:49]
	s_wait_loadcnt 0x2
	v_add_f64_e32 v[56:57], v[10:11], v[56:57]
	scratch_load_b64 v[10:11], off, off offset:1396 th:TH_LOAD_LU ; 8-byte Folded Reload
	s_wait_loadcnt 0x1
	v_add_f64_e32 v[22:23], v[108:109], v[22:23]
	scratch_load_b64 v[108:109], off, off offset:1508 th:TH_LOAD_LU ; 8-byte Folded Reload
	;; [unrolled: 3-line block ×3, first 2 shown]
	v_add_f64_e32 v[22:23], v[24:25], v[22:23]
	scratch_load_b64 v[24:25], off, off offset:1244 th:TH_LOAD_LU ; 8-byte Folded Reload
	s_wait_loadcnt 0x2
	v_add_f64_e32 v[14:15], v[108:109], v[14:15]
	scratch_load_b64 v[108:109], off, off offset:1532 th:TH_LOAD_LU ; 8-byte Folded Reload
	v_add_f64_e32 v[22:23], v[193:194], v[22:23]
	s_wait_loadcnt 0x2
	v_add_f64_e32 v[14:15], v[10:11], v[14:15]
	scratch_load_b64 v[10:11], off, off offset:1460 th:TH_LOAD_LU ; 8-byte Folded Reload
	s_wait_loadcnt 0x1
	v_add_f64_e32 v[42:43], v[108:109], v[42:43]
	s_wait_loadcnt 0x0
	s_delay_alu instid0(VALU_DEP_1)
	v_add_f64_e32 v[42:43], v[10:11], v[42:43]
	scratch_load_b64 v[10:11], off, off offset:1092 th:TH_LOAD_LU ; 8-byte Folded Reload
	v_add_f64_e32 v[42:43], v[24:25], v[42:43]
	scratch_load_b64 v[24:25], off, off offset:1052 th:TH_LOAD_LU ; 8-byte Folded Reload
	v_add_f64_e32 v[42:43], v[217:218], v[42:43]
	s_wait_loadcnt 0x1
	v_add_f64_e32 v[18:19], v[10:11], v[18:19]
	scratch_load_b64 v[10:11], off, off offset:1028 th:TH_LOAD_LU ; 8-byte Folded Reload
	s_wait_loadcnt 0x0
	v_add_f64_e32 v[20:21], v[10:11], v[60:61]
	scratch_load_b64 v[10:11], off, off offset:996 th:TH_LOAD_LU ; 8-byte Folded Reload
	v_add_f64_e32 v[20:21], v[24:25], v[20:21]
	scratch_load_b64 v[24:25], off, off offset:836 th:TH_LOAD_LU ; 8-byte Folded Reload
	v_add_f64_e32 v[20:21], v[187:188], v[20:21]
	s_wait_loadcnt 0x1
	v_add_f64_e32 v[36:37], v[10:11], v[40:41]
	scratch_load_b64 v[10:11], off, off offset:372 th:TH_LOAD_LU ; 8-byte Folded Reload
	v_add_f64_e64 v[243:244], v[243:244], -v[195:196]
	v_mul_f64_e32 v[40:41], s[14:15], v[229:230]
	s_wait_loadcnt 0x1
	v_add_f64_e32 v[32:33], v[24:25], v[32:33]
	scratch_load_b64 v[24:25], off, off offset:980 th:TH_LOAD_LU ; 8-byte Folded Reload
	v_add_f64_e32 v[32:33], v[213:214], v[32:33]
	s_wait_loadcnt 0x0
	v_add_f64_e32 v[36:37], v[24:25], v[36:37]
	scratch_load_b64 v[24:25], off, off offset:1076 th:TH_LOAD_LU ; 8-byte Folded Reload
	v_add_f64_e32 v[36:37], v[189:190], v[36:37]
	s_wait_loadcnt 0x0
	v_add_f64_e32 v[18:19], v[24:25], v[18:19]
	scratch_load_b64 v[24:25], off, off offset:1204 th:TH_LOAD_LU ; 8-byte Folded Reload
	s_wait_loadcnt 0x0
	v_add_f64_e32 v[14:15], v[24:25], v[14:15]
	scratch_load_b64 v[24:25], off, off offset:1156 th:TH_LOAD_LU ; 8-byte Folded Reload
	v_add_f64_e32 v[60:61], v[197:198], v[14:15]
	v_add_f64_e32 v[14:15], v[221:222], v[48:49]
	s_wait_loadcnt 0x0
	v_add_f64_e32 v[46:47], v[24:25], v[56:57]
	scratch_load_b64 v[24:25], off, off offset:1116 th:TH_LOAD_LU ; 8-byte Folded Reload
	v_add_f64_e32 v[56:57], v[233:234], v[18:19]
	v_add_f64_e32 v[18:19], v[44:45], v[22:23]
	;; [unrolled: 1-line block ×4, first 2 shown]
	s_wait_loadcnt 0x0
	v_add_f64_e32 v[26:27], v[24:25], v[26:27]
	scratch_load_b64 v[24:25], off, off offset:356 th:TH_LOAD_LU ; 8-byte Folded Reload
	v_add_f64_e32 v[6:7], v[6:7], v[10:11]
	scratch_load_b64 v[10:11], off, off offset:364 th:TH_LOAD_LU ; 8-byte Folded Reload
	v_add_f64_e32 v[62:63], v[231:232], v[26:27]
	v_add_f64_e32 v[26:27], v[64:65], v[20:21]
	;; [unrolled: 1-line block ×3, first 2 shown]
	s_delay_alu instid0(VALU_DEP_3)
	v_add_f64_e32 v[8:9], v[207:208], v[62:63]
	s_wait_loadcnt 0x1
	v_add_f64_e32 v[6:7], v[6:7], v[24:25]
	scratch_load_b64 v[24:25], off, off offset:348 th:TH_LOAD_LU ; 8-byte Folded Reload
	s_wait_loadcnt 0x1
	v_add_f64_e32 v[12:13], v[12:13], v[10:11]
	scratch_load_b64 v[10:11], off, off offset:532 th:TH_LOAD_LU ; 8-byte Folded Reload
	v_add_f64_e32 v[90:91], v[6:7], v[0:1]
	scratch_load_b64 v[0:1], off, off offset:332 th:TH_LOAD_LU ; 8-byte Folded Reload
	s_wait_loadcnt 0x2
	v_add_f64_e32 v[12:13], v[12:13], v[24:25]
	v_mul_f64_e32 v[24:25], s[30:31], v[227:228]
	s_wait_loadcnt 0x0
	s_delay_alu instid0(VALU_DEP_2) | instskip(NEXT) | instid1(VALU_DEP_2)
	v_add_f64_e32 v[108:109], v[12:13], v[0:1]
	v_fma_f64 v[34:35], v[223:224], s[0:1], v[24:25]
	v_fma_f64 v[24:25], v[223:224], s[0:1], -v[24:25]
	v_add_f64_e32 v[12:13], v[88:89], v[46:47]
	s_delay_alu instid0(VALU_DEP_2)
	v_add_f64_e32 v[4:5], v[24:25], v[4:5]
	v_add_f64_e32 v[24:25], v[243:244], v[36:37]
	scratch_load_b64 v[36:37], off, off offset:812 th:TH_LOAD_LU ; 8-byte Folded Reload
	v_add_f64_e32 v[40:41], v[10:11], v[40:41]
	scratch_load_b64 v[10:11], off, off offset:1108 th:TH_LOAD_LU ; 8-byte Folded Reload
	s_wait_loadcnt 0x0
	v_add_f64_e32 v[38:39], v[10:11], v[38:39]
	scratch_load_b64 v[10:11], off, off offset:892 th:TH_LOAD_LU ; 8-byte Folded Reload
	v_add_f64_e32 v[38:39], v[126:127], v[38:39]
	s_wait_loadcnt 0x0
	v_add_f64_e32 v[10:11], v[10:11], v[50:51]
	v_mul_f64_e32 v[50:51], s[14:15], v[223:224]
	s_delay_alu instid0(VALU_DEP_2) | instskip(NEXT) | instid1(VALU_DEP_2)
	v_add_f64_e32 v[10:11], v[162:163], v[10:11]
	v_add_f64_e64 v[50:51], v[50:51], -v[54:55]
	v_add_f64_e32 v[54:55], v[160:161], v[2:3]
	v_add_f64_e32 v[2:3], v[201:202], v[38:39]
	;; [unrolled: 1-line block ×3, first 2 shown]
	v_dual_mov_b32 v160, v170 :: v_dual_mov_b32 v161, v171
	v_dual_mov_b32 v162, v172 :: v_dual_mov_b32 v163, v173
	scratch_load_b64 v[36:37], off, off offset:572 th:TH_LOAD_LU ; 8-byte Folded Reload
	v_add_f64_e32 v[6:7], v[174:175], v[10:11]
	v_add_f64_e32 v[10:11], v[199:200], v[30:31]
	;; [unrolled: 1-line block ×4, first 2 shown]
	s_clause 0x1
	scratch_load_b64 v[68:69], off, off offset:804
	scratch_load_b128 v[40:43], off, off
	v_add_f64_e32 v[30:31], v[58:59], v[28:29]
	v_add_f64_e32 v[28:29], v[16:17], v[32:33]
	;; [unrolled: 1-line block ×4, first 2 shown]
	s_wait_loadcnt 0x2
	v_add_f64_e32 v[36:37], v[108:109], v[36:37]
	s_wait_loadcnt 0x0
	ds_store_b128 v255, v[40:43] offset:8800
	ds_store_b128 v255, v[112:115] offset:9600
	;; [unrolled: 1-line block ×14, first 2 shown]
	ds_store_b128 v255, v[36:39]
	ds_store_b128 v255, v[122:125] offset:12800
.LBB0_5:
	s_or_b32 exec_lo, exec_lo, s33
	global_wb scope:SCOPE_SE
	s_wait_storecnt_dscnt 0x0
	s_barrier_signal -1
	s_barrier_wait -1
	global_inv scope:SCOPE_SE
	global_load_b128 v[0:3], v[68:69], off offset:13600
	s_add_nc_u64 s[0:1], s[8:9], 0x3520
	s_clause 0x8
	global_load_b128 v[4:7], v255, s[0:1] offset:1360
	global_load_b128 v[8:11], v255, s[0:1] offset:2720
	;; [unrolled: 1-line block ×9, first 2 shown]
	ds_load_b128 v[40:43], v255
	ds_load_b128 v[44:47], v255 offset:1360
	ds_load_b128 v[48:51], v255 offset:2720
	;; [unrolled: 1-line block ×5, first 2 shown]
	s_mov_b32 s0, 0x134454ff
	s_mov_b32 s1, 0xbfee6f0e
	s_mov_b32 s9, 0x3fee6f0e
	s_wait_alu 0xfffe
	s_mov_b32 s8, s0
	s_mov_b32 s12, 0x4755a5e
	s_mov_b32 s13, 0xbfe2cf23
	s_mov_b32 s15, 0x3fe2cf23
	s_wait_alu 0xfffe
	s_mov_b32 s14, s12
	;; [unrolled: 5-line block ×4, first 2 shown]
	s_wait_loadcnt_dscnt 0x804
	v_mul_f64_e32 v[66:67], v[46:47], v[6:7]
	v_mul_f64_e32 v[6:7], v[44:45], v[6:7]
	s_wait_loadcnt_dscnt 0x703
	v_mul_f64_e32 v[68:69], v[50:51], v[10:11]
	v_mul_f64_e32 v[10:11], v[48:49], v[10:11]
	;; [unrolled: 3-line block ×3, first 2 shown]
	v_mul_f64_e32 v[2:3], v[40:41], v[2:3]
	v_mul_f64_e32 v[14:15], v[52:53], v[14:15]
	s_wait_loadcnt_dscnt 0x501
	v_mul_f64_e32 v[88:89], v[58:59], v[18:19]
	v_mul_f64_e32 v[18:19], v[56:57], v[18:19]
	s_wait_loadcnt_dscnt 0x400
	v_mul_f64_e32 v[90:91], v[62:63], v[22:23]
	v_mul_f64_e32 v[22:23], v[60:61], v[22:23]
	v_fma_f64 v[40:41], v[40:41], v[0:1], -v[64:65]
	v_fma_f64 v[42:43], v[42:43], v[0:1], v[2:3]
	v_fma_f64 v[0:1], v[44:45], v[4:5], -v[66:67]
	v_fma_f64 v[2:3], v[46:47], v[4:5], v[6:7]
	ds_load_b128 v[44:47], v255 offset:8160
	v_fma_f64 v[4:5], v[48:49], v[8:9], -v[68:69]
	v_fma_f64 v[6:7], v[50:51], v[8:9], v[10:11]
	ds_load_b128 v[8:11], v255 offset:9520
	ds_load_b128 v[64:67], v255 offset:10880
	v_fma_f64 v[48:49], v[52:53], v[12:13], -v[70:71]
	v_fma_f64 v[50:51], v[54:55], v[12:13], v[14:15]
	ds_load_b128 v[12:15], v255 offset:12240
	v_fma_f64 v[52:53], v[56:57], v[16:17], -v[88:89]
	v_fma_f64 v[54:55], v[58:59], v[16:17], v[18:19]
	v_fma_f64 v[16:17], v[60:61], v[20:21], -v[90:91]
	v_fma_f64 v[18:19], v[62:63], v[20:21], v[22:23]
	s_wait_loadcnt_dscnt 0x303
	v_mul_f64_e32 v[68:69], v[46:47], v[26:27]
	v_mul_f64_e32 v[26:27], v[44:45], v[26:27]
	s_wait_loadcnt_dscnt 0x202
	v_mul_f64_e32 v[70:71], v[10:11], v[30:31]
	v_mul_f64_e32 v[30:31], v[8:9], v[30:31]
	;; [unrolled: 3-line block ×4, first 2 shown]
	v_fma_f64 v[20:21], v[44:45], v[24:25], -v[68:69]
	v_fma_f64 v[22:23], v[46:47], v[24:25], v[26:27]
	v_fma_f64 v[8:9], v[8:9], v[28:29], -v[70:71]
	v_fma_f64 v[10:11], v[10:11], v[28:29], v[30:31]
	;; [unrolled: 2-line block ×4, first 2 shown]
	ds_store_b128 v255, v[40:43]
	ds_store_b128 v255, v[0:3] offset:1360
	ds_store_b128 v255, v[4:7] offset:2720
	;; [unrolled: 1-line block ×9, first 2 shown]
	global_wb scope:SCOPE_SE
	s_wait_dscnt 0x0
	s_barrier_signal -1
	s_barrier_wait -1
	global_inv scope:SCOPE_SE
	ds_load_b128 v[0:3], v255 offset:12240
	ds_load_b128 v[4:7], v255 offset:4080
	;; [unrolled: 1-line block ×9, first 2 shown]
	ds_load_b128 v[36:39], v255
	global_wb scope:SCOPE_SE
	s_wait_dscnt 0x0
	s_barrier_signal -1
	s_barrier_wait -1
	global_inv scope:SCOPE_SE
	v_add_f64_e32 v[40:41], v[6:7], v[2:3]
	v_add_f64_e32 v[46:47], v[4:5], v[0:1]
	;; [unrolled: 1-line block ×4, first 2 shown]
	v_add_f64_e64 v[64:65], v[8:9], -v[12:13]
	v_add_f64_e32 v[50:51], v[16:17], v[24:25]
	v_add_f64_e32 v[48:49], v[20:21], v[28:29]
	;; [unrolled: 1-line block ×7, first 2 shown]
	v_add_f64_e64 v[66:67], v[4:5], -v[8:9]
	v_add_f64_e64 v[68:69], v[0:1], -v[12:13]
	;; [unrolled: 1-line block ×5, first 2 shown]
	v_add_f64_e32 v[54:55], v[18:19], v[26:27]
	v_add_f64_e64 v[108:109], v[18:19], -v[26:27]
	v_add_f64_e64 v[4:5], v[8:9], -v[4:5]
	;; [unrolled: 1-line block ×3, first 2 shown]
	v_fma_f64 v[40:41], v[40:41], -0.5, v[34:35]
	v_fma_f64 v[34:35], v[42:43], -0.5, v[34:35]
	v_add_f64_e64 v[42:43], v[6:7], -v[2:3]
	v_add_f64_e64 v[6:7], v[10:11], -v[6:7]
	v_fma_f64 v[44:45], v[44:45], -0.5, v[32:33]
	v_fma_f64 v[48:49], v[48:49], -0.5, v[36:37]
	;; [unrolled: 1-line block ×4, first 2 shown]
	v_add_f64_e64 v[52:53], v[14:15], -v[2:3]
	v_fma_f64 v[32:33], v[46:47], -0.5, v[32:33]
	v_add_f64_e64 v[46:47], v[10:11], -v[14:15]
	v_add_f64_e32 v[8:9], v[56:57], v[8:9]
	v_add_f64_e32 v[10:11], v[58:59], v[10:11]
	v_add_f64_e64 v[56:57], v[18:19], -v[22:23]
	v_add_f64_e64 v[18:19], v[22:23], -v[18:19]
	;; [unrolled: 1-line block ×3, first 2 shown]
	v_add_f64_e32 v[22:23], v[62:63], v[22:23]
	v_add_f64_e64 v[62:63], v[12:13], -v[0:1]
	v_add_f64_e32 v[66:67], v[66:67], v[68:69]
	v_add_f64_e32 v[88:89], v[88:89], v[90:91]
	v_fma_f64 v[38:39], v[54:55], -0.5, v[38:39]
	v_add_f64_e64 v[54:55], v[16:17], -v[20:21]
	v_add_f64_e64 v[16:17], v[20:21], -v[16:17]
	v_add_f64_e32 v[60:61], v[60:61], v[20:21]
	v_add_f64_e64 v[20:21], v[20:21], -v[28:29]
	v_fma_f64 v[68:69], v[64:65], s[0:1], v[40:41]
	v_fma_f64 v[40:41], v[64:65], s[8:9], v[40:41]
	;; [unrolled: 1-line block ×4, first 2 shown]
	v_add_f64_e32 v[6:7], v[6:7], v[52:53]
	v_fma_f64 v[52:53], v[42:43], s[0:1], v[44:45]
	v_fma_f64 v[44:45], v[42:43], s[8:9], v[44:45]
	v_add_f64_e32 v[8:9], v[8:9], v[12:13]
	v_add_f64_e32 v[10:11], v[10:11], v[14:15]
	;; [unrolled: 1-line block ×4, first 2 shown]
	v_add_f64_e64 v[62:63], v[24:25], -v[28:29]
	v_fma_f64 v[68:69], v[70:71], s[14:15], v[68:69]
	v_fma_f64 v[40:41], v[70:71], s[12:13], v[40:41]
	;; [unrolled: 1-line block ×6, first 2 shown]
	v_add_f64_e64 v[70:71], v[28:29], -v[24:25]
	v_add_f64_e32 v[28:29], v[60:61], v[28:29]
	v_fma_f64 v[52:53], v[46:47], s[12:13], v[52:53]
	v_fma_f64 v[44:45], v[46:47], s[14:15], v[44:45]
	;; [unrolled: 1-line block ×4, first 2 shown]
	v_add_f64_e32 v[8:9], v[8:9], v[0:1]
	v_add_f64_e32 v[10:11], v[10:11], v[2:3]
	;; [unrolled: 1-line block ×4, first 2 shown]
	v_add_f64_e64 v[62:63], v[26:27], -v[30:31]
	v_fma_f64 v[68:69], v[6:7], s[10:11], v[68:69]
	v_fma_f64 v[6:7], v[6:7], s[10:11], v[40:41]
	;; [unrolled: 1-line block ×6, first 2 shown]
	v_add_f64_e32 v[16:17], v[16:17], v[70:71]
	v_add_f64_e64 v[70:71], v[30:31], -v[26:27]
	v_fma_f64 v[42:43], v[58:59], s[8:9], v[36:37]
	v_fma_f64 v[36:37], v[58:59], s[0:1], v[36:37]
	v_fma_f64 v[52:53], v[66:67], s[10:11], v[52:53]
	v_fma_f64 v[34:35], v[88:89], s[10:11], v[34:35]
	v_fma_f64 v[88:89], v[20:21], s[0:1], v[38:39]
	v_fma_f64 v[50:51], v[110:111], s[0:1], v[50:51]
	v_fma_f64 v[38:39], v[20:21], s[8:9], v[38:39]
	v_fma_f64 v[12:13], v[58:59], s[12:13], v[46:47]
	v_fma_f64 v[14:15], v[58:59], s[14:15], v[48:49]
	v_fma_f64 v[44:45], v[66:67], s[10:11], v[44:45]
	v_add_f64_e32 v[24:25], v[28:29], v[24:25]
	v_add_f64_e32 v[2:3], v[22:23], v[10:11]
	;; [unrolled: 1-line block ×3, first 2 shown]
	v_mul_f64_e32 v[48:49], s[0:1], v[68:69]
	v_mul_f64_e32 v[62:63], s[10:11], v[68:69]
	v_fma_f64 v[40:41], v[20:21], s[14:15], v[40:41]
	v_fma_f64 v[46:47], v[4:5], s[10:11], v[64:65]
	;; [unrolled: 1-line block ×3, first 2 shown]
	v_mul_f64_e32 v[32:33], s[12:13], v[90:91]
	v_add_f64_e32 v[18:19], v[18:19], v[70:71]
	v_fma_f64 v[30:31], v[108:109], s[12:13], v[42:43]
	v_fma_f64 v[36:37], v[108:109], s[14:15], v[36:37]
	v_mul_f64_e32 v[60:61], s[14:15], v[52:53]
	v_mul_f64_e32 v[58:59], s[12:13], v[34:35]
	v_fma_f64 v[42:43], v[110:111], s[14:15], v[88:89]
	v_fma_f64 v[20:21], v[20:21], s[12:13], v[50:51]
	;; [unrolled: 1-line block ×3, first 2 shown]
	v_mul_f64_e32 v[50:51], s[0:1], v[6:7]
	v_mul_f64_e32 v[6:7], s[18:19], v[6:7]
	s_wait_alu 0xfffe
	v_mul_f64_e32 v[34:35], s[20:21], v[34:35]
	v_fma_f64 v[26:27], v[54:55], s[10:11], v[12:13]
	v_fma_f64 v[54:55], v[54:55], s[10:11], v[14:15]
	v_add_f64_e32 v[0:1], v[24:25], v[8:9]
	v_fma_f64 v[40:41], v[56:57], s[10:11], v[40:41]
	v_fma_f64 v[32:33], v[52:53], s[16:17], v[32:33]
	;; [unrolled: 1-line block ×14, first 2 shown]
	v_add_f64_e64 v[4:5], v[24:25], -v[8:9]
	v_add_f64_e64 v[6:7], v[22:23], -v[10:11]
	v_add_f64_e32 v[8:9], v[26:27], v[32:33]
	v_add_f64_e64 v[24:25], v[26:27], -v[32:33]
	v_add_f64_e32 v[10:11], v[40:41], v[52:53]
	v_add_f64_e32 v[12:13], v[28:29], v[36:37]
	v_add_f64_e64 v[26:27], v[40:41], -v[52:53]
	v_add_f64_e32 v[14:15], v[42:43], v[46:47]
	v_add_f64_e64 v[28:29], v[28:29], -v[36:37]
	v_add_f64_e32 v[16:17], v[30:31], v[48:49]
	v_add_f64_e32 v[20:21], v[54:55], v[50:51]
	;; [unrolled: 1-line block ×3, first 2 shown]
	v_add_f64_e64 v[32:33], v[30:31], -v[48:49]
	v_add_f64_e32 v[22:23], v[56:57], v[44:45]
	v_add_f64_e64 v[30:31], v[42:43], -v[46:47]
	v_add_f64_e64 v[34:35], v[38:39], -v[58:59]
	;; [unrolled: 1-line block ×4, first 2 shown]
	ds_store_b128 v178, v[0:3]
	ds_store_b128 v178, v[8:11] offset:16
	ds_store_b128 v178, v[12:15] offset:32
	;; [unrolled: 1-line block ×9, first 2 shown]
	global_wb scope:SCOPE_SE
	s_wait_dscnt 0x0
	s_barrier_signal -1
	s_barrier_wait -1
	global_inv scope:SCOPE_SE
	ds_load_b128 v[0:3], v255 offset:2720
	ds_load_b128 v[4:7], v255 offset:5440
	;; [unrolled: 1-line block ×8, first 2 shown]
	s_wait_dscnt 0x7
	v_mul_f64_e32 v[32:33], v[86:87], v[2:3]
	s_wait_dscnt 0x6
	v_mul_f64_e32 v[34:35], v[78:79], v[6:7]
	;; [unrolled: 2-line block ×3, first 2 shown]
	v_mul_f64_e32 v[38:39], v[86:87], v[0:1]
	s_wait_dscnt 0x4
	v_mul_f64_e32 v[40:41], v[82:83], v[14:15]
	v_mul_f64_e32 v[42:43], v[78:79], v[4:5]
	;; [unrolled: 1-line block ×4, first 2 shown]
	s_wait_dscnt 0x3
	v_mul_f64_e32 v[48:49], v[94:95], v[18:19]
	s_wait_dscnt 0x2
	v_mul_f64_e32 v[50:51], v[106:107], v[22:23]
	;; [unrolled: 2-line block ×3, first 2 shown]
	v_mul_f64_e32 v[54:55], v[106:107], v[20:21]
	s_wait_dscnt 0x0
	v_mul_f64_e32 v[56:57], v[98:99], v[30:31]
	v_mul_f64_e32 v[58:59], v[102:103], v[24:25]
	;; [unrolled: 1-line block ×4, first 2 shown]
	v_fma_f64 v[32:33], v[84:85], v[0:1], v[32:33]
	v_fma_f64 v[34:35], v[76:77], v[4:5], v[34:35]
	;; [unrolled: 1-line block ×3, first 2 shown]
	v_fma_f64 v[36:37], v[84:85], v[2:3], -v[38:39]
	v_fma_f64 v[12:13], v[80:81], v[12:13], v[40:41]
	v_fma_f64 v[38:39], v[76:77], v[6:7], -v[42:43]
	v_fma_f64 v[10:11], v[72:73], v[10:11], -v[44:45]
	;; [unrolled: 1-line block ×3, first 2 shown]
	v_fma_f64 v[16:17], v[92:93], v[16:17], v[48:49]
	v_fma_f64 v[20:21], v[104:105], v[20:21], v[50:51]
	;; [unrolled: 1-line block ×3, first 2 shown]
	v_fma_f64 v[22:23], v[104:105], v[22:23], -v[54:55]
	v_fma_f64 v[28:29], v[96:97], v[28:29], v[56:57]
	v_fma_f64 v[26:27], v[100:101], v[26:27], -v[58:59]
	v_fma_f64 v[18:19], v[92:93], v[18:19], -v[60:61]
	;; [unrolled: 1-line block ×3, first 2 shown]
	ds_load_b128 v[0:3], v255
	ds_load_b128 v[4:7], v255 offset:1360
	global_wb scope:SCOPE_SE
	s_wait_dscnt 0x0
	s_barrier_signal -1
	s_barrier_wait -1
	global_inv scope:SCOPE_SE
	v_add_f64_e32 v[56:57], v[0:1], v[32:33]
	v_add_f64_e32 v[40:41], v[34:35], v[8:9]
	;; [unrolled: 1-line block ×4, first 2 shown]
	v_add_f64_e64 v[68:69], v[32:33], -v[12:13]
	v_add_f64_e32 v[44:45], v[38:39], v[10:11]
	v_add_f64_e32 v[46:47], v[36:37], v[14:15]
	v_add_f64_e64 v[58:59], v[36:37], -v[14:15]
	v_add_f64_e64 v[60:61], v[38:39], -v[10:11]
	v_add_f64_e32 v[48:49], v[20:21], v[24:25]
	v_add_f64_e32 v[64:65], v[4:5], v[16:17]
	;; [unrolled: 1-line block ×6, first 2 shown]
	v_add_f64_e64 v[70:71], v[18:19], -v[30:31]
	v_add_f64_e64 v[72:73], v[16:17], -v[28:29]
	v_add_f64_e64 v[74:75], v[12:13], -v[8:9]
	v_add_f64_e64 v[76:77], v[8:9], -v[12:13]
	v_add_f64_e64 v[78:79], v[36:37], -v[38:39]
	v_add_f64_e64 v[80:81], v[14:15], -v[10:11]
	v_add_f64_e64 v[36:37], v[38:39], -v[36:37]
	v_add_f64_e64 v[82:83], v[10:11], -v[14:15]
	v_add_f64_e64 v[84:85], v[16:17], -v[20:21]
	v_add_f64_e64 v[86:87], v[28:29], -v[24:25]
	v_add_f64_e64 v[16:17], v[20:21], -v[16:17]
	v_add_f64_e64 v[88:89], v[24:25], -v[28:29]
	v_add_f64_e64 v[90:91], v[18:19], -v[22:23]
	v_add_f64_e64 v[92:93], v[30:31], -v[26:27]
	v_add_f64_e64 v[18:19], v[22:23], -v[18:19]
	v_add_f64_e64 v[94:95], v[26:27], -v[30:31]
	v_fma_f64 v[40:41], v[40:41], -0.5, v[0:1]
	v_add_f64_e32 v[38:39], v[62:63], v[38:39]
	v_fma_f64 v[0:1], v[42:43], -0.5, v[0:1]
	v_add_f64_e64 v[42:43], v[34:35], -v[8:9]
	v_fma_f64 v[44:45], v[44:45], -0.5, v[2:3]
	v_fma_f64 v[2:3], v[46:47], -0.5, v[2:3]
	v_add_f64_e64 v[46:47], v[22:23], -v[26:27]
	v_fma_f64 v[48:49], v[48:49], -0.5, v[4:5]
	;; [unrolled: 3-line block ×3, first 2 shown]
	v_fma_f64 v[6:7], v[54:55], -0.5, v[6:7]
	v_add_f64_e64 v[54:55], v[32:33], -v[34:35]
	v_add_f64_e64 v[32:33], v[34:35], -v[32:33]
	v_add_f64_e32 v[34:35], v[56:57], v[34:35]
	v_add_f64_e32 v[20:21], v[64:65], v[20:21]
	;; [unrolled: 1-line block ×9, first 2 shown]
	v_fma_f64 v[56:57], v[58:59], s[0:1], v[40:41]
	v_fma_f64 v[40:41], v[58:59], s[8:9], v[40:41]
	;; [unrolled: 1-line block ×16, first 2 shown]
	v_add_f64_e32 v[54:55], v[54:55], v[74:75]
	v_add_f64_e32 v[32:33], v[32:33], v[76:77]
	;; [unrolled: 1-line block ×6, first 2 shown]
	v_fma_f64 v[24:25], v[60:61], s[12:13], v[56:57]
	v_fma_f64 v[26:27], v[60:61], s[14:15], v[40:41]
	;; [unrolled: 1-line block ×16, first 2 shown]
	v_add_f64_e32 v[72:73], v[8:9], v[12:13]
	v_add_f64_e32 v[74:75], v[10:11], v[14:15]
	;; [unrolled: 1-line block ×4, first 2 shown]
	v_fma_f64 v[164:165], v[54:55], s[10:11], v[24:25]
	v_fma_f64 v[80:81], v[54:55], s[10:11], v[26:27]
	;; [unrolled: 1-line block ×16, first 2 shown]
	ds_store_b128 v121, v[72:75]
	ds_store_b128 v121, v[164:167] offset:160
	ds_store_b128 v121, v[100:103] offset:320
	;; [unrolled: 1-line block ×4, first 2 shown]
	ds_store_b128 v120, v[84:87]
	ds_store_b128 v120, v[92:95] offset:160
	ds_store_b128 v120, v[96:99] offset:320
	ds_store_b128 v120, v[104:107] offset:480
	ds_store_b128 v120, v[168:171] offset:640
	global_wb scope:SCOPE_SE
	s_wait_dscnt 0x0
	s_barrier_signal -1
	s_barrier_wait -1
	global_inv scope:SCOPE_SE
	s_and_saveexec_b32 s0, vcc_lo
	s_cbranch_execz .LBB0_7
; %bb.6:
	ds_load_b128 v[72:75], v255
	ds_load_b128 v[164:167], v255 offset:800
	ds_load_b128 v[100:103], v255 offset:1600
	;; [unrolled: 1-line block ×11, first 2 shown]
	s_wait_dscnt 0x0
	scratch_store_b128 off, v[0:3], off     ; 16-byte Folded Spill
	ds_load_b128 v[136:139], v255 offset:9600
	ds_load_b128 v[132:135], v255 offset:10400
	;; [unrolled: 1-line block ×5, first 2 shown]
.LBB0_7:
	s_wait_alu 0xfffe
	s_or_b32 exec_lo, exec_lo, s0
	s_and_saveexec_b32 s33, vcc_lo
	s_cbranch_execz .LBB0_9
; %bb.8:
	s_clause 0x1
	scratch_load_b128 v[2:5], off, off offset:252 th:TH_LOAD_LU
	scratch_load_b128 v[10:13], off, off offset:284 th:TH_LOAD_LU
	v_mul_f64_e32 v[0:1], v[118:119], v[166:167]
	s_clause 0x1
	scratch_load_b128 v[26:29], off, off th:TH_LOAD_LU
	scratch_load_b128 v[34:37], off, off offset:188 th:TH_LOAD_LU
	s_mov_b32 s20, 0xeb564b22
	s_mov_b32 s14, 0x7c9e640b
	;; [unrolled: 1-line block ×18, first 2 shown]
	s_wait_alu 0xfffe
	s_mov_b32 s18, s12
	s_mov_b32 s16, s20
	;; [unrolled: 1-line block ×17, first 2 shown]
	v_fma_f64 v[172:173], v[116:117], v[164:165], v[0:1]
	v_mul_f64_e32 v[0:1], v[118:119], v[164:165]
	s_mov_b32 s37, 0xbfeb34fa
	s_mov_b32 s31, 0x3fedd6d0
	;; [unrolled: 1-line block ×7, first 2 shown]
	s_clause 0x2
	scratch_load_b128 v[40:43], off, off offset:204 th:TH_LOAD_LU
	scratch_load_b128 v[22:25], off, off offset:268 th:TH_LOAD_LU
	;; [unrolled: 1-line block ×3, first 2 shown]
	v_fma_f64 v[164:165], v[116:117], v[166:167], -v[0:1]
	s_wait_loadcnt_dscnt 0x600
	v_mul_f64_e32 v[0:1], v[4:5], v[124:125]
	s_wait_loadcnt 0x5
	v_mul_f64_e32 v[6:7], v[12:13], v[92:93]
	s_wait_loadcnt 0x4
	;; [unrolled: 2-line block ×3, first 2 shown]
	v_mul_f64_e32 v[14:15], v[36:37], v[82:83]
	v_mul_f64_e32 v[16:17], v[36:37], v[80:81]
	v_fma_f64 v[68:69], v[2:3], v[122:123], v[0:1]
	v_mul_f64_e32 v[0:1], v[4:5], v[122:123]
	v_fma_f64 v[58:59], v[156:157], v[26:27], v[8:9]
	v_fma_f64 v[56:57], v[34:35], v[80:81], v[14:15]
	v_fma_f64 v[60:61], v[34:35], v[82:83], -v[16:17]
	s_wait_loadcnt 0x1
	v_mul_f64_e32 v[18:19], v[24:25], v[86:87]
	v_mul_f64_e32 v[20:21], v[24:25], v[84:85]
	s_wait_loadcnt 0x0
	v_mul_f64_e32 v[8:9], v[48:49], v[78:79]
	v_fma_f64 v[70:71], v[2:3], v[124:125], -v[0:1]
	scratch_load_b128 v[2:5], off, off offset:220 th:TH_LOAD_LU ; 16-byte Folded Reload
	v_fma_f64 v[84:85], v[22:23], v[84:85], v[18:19]
	v_fma_f64 v[86:87], v[22:23], v[86:87], -v[20:21]
	v_mul_f64_e32 v[18:19], v[48:49], v[76:77]
	v_fma_f64 v[66:67], v[46:47], v[76:77], v[8:9]
	s_delay_alu instid0(VALU_DEP_2) | instskip(SKIP_3) | instid1(VALU_DEP_1)
	v_fma_f64 v[76:77], v[46:47], v[78:79], -v[18:19]
	v_add_f64_e32 v[78:79], v[172:173], v[68:69]
	s_wait_loadcnt 0x0
	v_mul_f64_e32 v[0:1], v[4:5], v[102:103]
	v_fma_f64 v[116:117], v[2:3], v[100:101], v[0:1]
	v_mul_f64_e32 v[0:1], v[4:5], v[100:101]
	s_delay_alu instid0(VALU_DEP_1) | instskip(SKIP_3) | instid1(VALU_DEP_1)
	v_fma_f64 v[110:111], v[2:3], v[102:103], -v[0:1]
	scratch_load_b128 v[2:5], off, off offset:236 th:TH_LOAD_LU ; 16-byte Folded Reload
	s_wait_loadcnt 0x0
	v_mul_f64_e32 v[0:1], v[4:5], v[150:151]
	v_fma_f64 v[100:101], v[2:3], v[148:149], v[0:1]
	v_mul_f64_e32 v[0:1], v[4:5], v[148:149]
	s_delay_alu instid0(VALU_DEP_2) | instskip(NEXT) | instid1(VALU_DEP_2)
	v_add_f64_e64 v[174:175], v[116:117], -v[100:101]
	v_fma_f64 v[102:103], v[2:3], v[150:151], -v[0:1]
	scratch_load_b128 v[2:5], off, off offset:300 th:TH_LOAD_LU ; 16-byte Folded Reload
	v_add_f64_e32 v[166:167], v[116:117], v[100:101]
	s_wait_alu 0xfffe
	v_mul_f64_e32 v[216:217], s[28:29], v[174:175]
	s_wait_loadcnt 0x0
	v_mul_f64_e32 v[0:1], v[4:5], v[106:107]
	s_delay_alu instid0(VALU_DEP_1) | instskip(SKIP_2) | instid1(VALU_DEP_2)
	v_fma_f64 v[108:109], v[2:3], v[104:105], v[0:1]
	v_mul_f64_e32 v[0:1], v[4:5], v[104:105]
	v_mul_f64_e32 v[4:5], v[146:147], v[162:163]
	v_fma_f64 v[106:107], v[2:3], v[106:107], -v[0:1]
	v_mul_f64_e32 v[0:1], v[142:143], v[170:171]
	v_mul_f64_e32 v[2:3], v[154:155], v[96:97]
	s_delay_alu instid0(VALU_DEP_2) | instskip(SKIP_1) | instid1(VALU_DEP_3)
	v_fma_f64 v[104:105], v[140:141], v[168:169], v[0:1]
	v_mul_f64_e32 v[0:1], v[142:143], v[168:169]
	v_fma_f64 v[114:115], v[152:153], v[98:99], -v[2:3]
	v_mul_f64_e32 v[2:3], v[12:13], v[94:95]
	v_fma_f64 v[94:95], v[10:11], v[94:95], -v[6:7]
	v_add_f64_e64 v[6:7], v[172:173], -v[68:69]
	v_mul_f64_e32 v[12:13], v[205:206], v[136:137]
	v_add_f64_e64 v[168:169], v[110:111], -v[102:103]
	v_fma_f64 v[112:113], v[140:141], v[170:171], -v[0:1]
	v_mul_f64_e32 v[0:1], v[154:155], v[98:99]
	v_fma_f64 v[92:93], v[10:11], v[92:93], v[2:3]
	v_mul_f64_e32 v[2:3], v[42:43], v[132:133]
	v_fma_f64 v[98:99], v[144:145], v[160:161], v[4:5]
	v_mul_f64_e32 v[4:5], v[205:206], v[138:139]
	v_mul_f64_e32 v[30:31], s[10:11], v[6:7]
	;; [unrolled: 1-line block ×8, first 2 shown]
	v_fma_f64 v[24:25], v[203:204], v[138:139], -v[12:13]
	v_add_f64_e32 v[154:155], v[108:109], v[104:105]
	v_add_f64_e64 v[170:171], v[106:107], -v[112:113]
	v_fma_f64 v[96:97], v[152:153], v[96:97], v[0:1]
	v_mul_f64_e32 v[0:1], v[146:147], v[160:161]
	v_fma_f64 v[12:13], v[40:41], v[134:135], -v[2:3]
	v_add_f64_e32 v[160:161], v[74:75], v[164:165]
	v_fma_f64 v[22:23], v[203:204], v[136:137], v[4:5]
	v_add_f64_e32 v[4:5], v[164:165], v[70:71]
	v_mul_f64_e32 v[212:213], s[20:21], v[170:171]
	v_mul_f64_e32 v[214:215], s[14:15], v[170:171]
	v_fma_f64 v[118:119], v[144:145], v[162:163], -v[0:1]
	v_mul_f64_e32 v[0:1], v[158:159], v[26:27]
	v_add_f64_e64 v[26:27], v[164:165], -v[70:71]
	v_add_f64_e32 v[162:163], v[72:73], v[172:173]
	v_fma_f64 v[46:47], v[4:5], s[40:41], v[32:33]
	v_fma_f64 v[32:33], v[4:5], s[40:41], -v[32:33]
	v_fma_f64 v[48:49], v[4:5], s[46:47], v[14:15]
	v_fma_f64 v[14:15], v[4:5], s[46:47], -v[14:15]
	;; [unrolled: 2-line block ×3, first 2 shown]
	v_fma_f64 v[52:53], v[4:5], s[42:43], -v[34:35]
	v_fma_f64 v[54:55], v[4:5], s[38:39], -v[36:37]
	;; [unrolled: 1-line block ×3, first 2 shown]
	v_fma_f64 v[34:35], v[4:5], s[42:43], v[34:35]
	v_fma_f64 v[36:37], v[4:5], s[38:39], v[36:37]
	v_add_f64_e32 v[172:173], v[110:111], v[102:103]
	v_add_f64_e32 v[110:111], v[160:161], v[110:111]
	v_mul_f64_e32 v[240:241], s[22:23], v[170:171]
	v_fma_f64 v[122:123], v[156:157], v[28:29], -v[0:1]
	v_mul_f64_e32 v[0:1], v[42:43], v[134:135]
	scratch_load_b128 v[42:45], off, off offset:316 th:TH_LOAD_LU ; 16-byte Folded Reload
	v_mul_f64_e32 v[28:29], s[22:23], v[6:7]
	v_mul_f64_e32 v[8:9], s[22:23], v[26:27]
	;; [unrolled: 1-line block ×4, first 2 shown]
	v_add_f64_e32 v[188:189], v[74:75], v[46:47]
	v_add_f64_e32 v[134:135], v[74:75], v[32:33]
	;; [unrolled: 1-line block ×3, first 2 shown]
	v_mul_f64_e32 v[46:47], s[12:13], v[168:169]
	v_add_f64_e32 v[192:193], v[74:75], v[62:63]
	v_add_f64_e32 v[32:33], v[84:85], v[22:23]
	;; [unrolled: 1-line block ×3, first 2 shown]
	v_add_f64_e64 v[36:37], v[86:87], -v[24:25]
	v_add_f64_e64 v[16:17], v[114:115], -v[118:119]
	v_add_f64_e32 v[116:117], v[162:163], v[116:117]
	v_fma_f64 v[6:7], v[40:41], v[132:133], v[0:1]
	v_mul_f64_e32 v[40:41], s[16:17], v[26:27]
	v_add_f64_e32 v[132:133], v[74:75], v[54:55]
	v_fma_f64 v[80:81], v[78:79], s[34:35], -v[8:9]
	v_fma_f64 v[8:9], v[78:79], s[34:35], v[8:9]
	v_fma_f64 v[138:139], v[78:79], s[38:39], v[64:65]
	v_fma_f64 v[64:65], v[78:79], s[38:39], -v[64:65]
	v_fma_f64 v[88:89], v[78:79], s[40:41], -v[18:19]
	v_fma_f64 v[18:19], v[78:79], s[40:41], v[18:19]
	v_mul_f64_e32 v[198:199], s[0:1], v[36:37]
	v_mul_f64_e32 v[206:207], s[24:25], v[16:17]
	v_add_f64_e64 v[150:151], v[56:57], -v[6:7]
	v_fma_f64 v[120:121], v[78:79], s[44:45], -v[40:41]
	v_fma_f64 v[40:41], v[78:79], s[44:45], v[40:41]
	v_add_f64_e32 v[148:149], v[72:73], v[80:81]
	v_add_f64_e32 v[178:179], v[72:73], v[8:9]
	v_fma_f64 v[8:9], v[166:167], s[30:31], -v[46:47]
	v_add_f64_e32 v[146:147], v[72:73], v[64:65]
	v_add_f64_e64 v[64:65], v[60:61], -v[12:13]
	v_add_f64_e32 v[190:191], v[72:73], v[88:89]
	v_add_f64_e32 v[126:127], v[72:73], v[18:19]
	;; [unrolled: 1-line block ×3, first 2 shown]
	v_fma_f64 v[46:47], v[166:167], s[30:31], v[46:47]
	v_add_f64_e64 v[18:19], v[96:97], -v[98:99]
	v_add_f64_e32 v[120:121], v[72:73], v[120:121]
	v_add_f64_e32 v[8:9], v[8:9], v[148:149]
	;; [unrolled: 1-line block ×3, first 2 shown]
	v_mul_f64_e32 v[54:55], s[8:9], v[64:65]
	v_add_f64_e32 v[46:47], v[46:47], v[178:179]
	v_mul_f64_e32 v[204:205], s[24:25], v[18:19]
	s_wait_loadcnt 0x0
	v_mul_f64_e32 v[10:11], v[44:45], v[130:131]
	v_mul_f64_e32 v[20:21], v[44:45], v[128:129]
	v_fma_f64 v[44:45], v[4:5], s[36:37], v[30:31]
	v_fma_f64 v[30:31], v[4:5], s[36:37], -v[30:31]
	s_delay_alu instid0(VALU_DEP_4) | instskip(NEXT) | instid1(VALU_DEP_4)
	v_fma_f64 v[0:1], v[42:43], v[128:129], v[10:11]
	v_fma_f64 v[2:3], v[42:43], v[130:131], -v[20:21]
	v_mul_f64_e32 v[10:11], s[10:11], v[26:27]
	v_mul_f64_e32 v[20:21], s[24:25], v[26:27]
	v_fma_f64 v[42:43], v[4:5], s[34:35], v[28:29]
	v_fma_f64 v[28:29], v[4:5], s[34:35], -v[28:29]
	v_fma_f64 v[4:5], v[4:5], s[30:31], v[38:39]
	v_mul_f64_e32 v[38:39], s[18:19], v[26:27]
	v_mul_f64_e32 v[26:27], s[26:27], v[26:27]
	v_add_f64_e32 v[180:181], v[74:75], v[44:45]
	v_mul_f64_e32 v[44:45], s[12:13], v[174:175]
	v_add_f64_e32 v[184:185], v[74:75], v[30:31]
	v_add_f64_e32 v[128:129], v[74:75], v[48:49]
	;; [unrolled: 1-line block ×3, first 2 shown]
	v_mul_f64_e32 v[52:53], s[8:9], v[150:151]
	v_add_f64_e64 v[30:31], v[92:93], -v[58:59]
	v_add_f64_e64 v[164:165], v[66:67], -v[0:1]
	v_add_f64_e32 v[158:159], v[76:77], v[2:3]
	v_fma_f64 v[82:83], v[78:79], s[36:37], -v[10:11]
	v_fma_f64 v[90:91], v[78:79], s[46:47], -v[20:21]
	v_fma_f64 v[10:11], v[78:79], s[36:37], v[10:11]
	v_add_f64_e32 v[42:43], v[74:75], v[42:43]
	v_add_f64_e32 v[176:177], v[74:75], v[28:29]
	v_fma_f64 v[140:141], v[78:79], s[30:31], v[38:39]
	v_fma_f64 v[136:137], v[78:79], s[42:43], v[26:27]
	v_add_f64_e64 v[156:157], v[76:77], -v[2:3]
	v_add_f64_e32 v[152:153], v[66:67], v[0:1]
	v_fma_f64 v[20:21], v[78:79], s[46:47], v[20:21]
	v_fma_f64 v[26:27], v[78:79], s[42:43], -v[26:27]
	v_fma_f64 v[38:39], v[78:79], s[30:31], -v[38:39]
	v_add_f64_e32 v[78:79], v[72:73], v[40:41]
	v_mul_f64_e32 v[200:201], s[14:15], v[30:31]
	v_add_f64_e64 v[28:29], v[94:95], -v[122:123]
	v_add_f64_e32 v[76:77], v[110:111], v[76:77]
	v_add_f64_e32 v[66:67], v[116:117], v[66:67]
	v_mul_f64_e32 v[48:49], s[10:11], v[164:165]
	v_mul_f64_e32 v[160:161], s[8:9], v[164:165]
	v_add_f64_e32 v[182:183], v[72:73], v[82:83]
	v_add_f64_e32 v[80:81], v[72:73], v[90:91]
	;; [unrolled: 1-line block ×10, first 2 shown]
	v_fma_f64 v[4:5], v[172:173], s[30:31], v[44:45]
	v_mul_f64_e32 v[50:51], s[10:11], v[156:157]
	v_add_f64_e32 v[88:89], v[72:73], v[20:21]
	v_add_f64_e32 v[142:143], v[72:73], v[26:27]
	;; [unrolled: 1-line block ×3, first 2 shown]
	v_add_f64_e64 v[38:39], v[84:85], -v[22:23]
	v_fma_f64 v[44:45], v[172:173], s[30:31], -v[44:45]
	v_add_f64_e32 v[34:35], v[86:87], v[24:25]
	v_add_f64_e32 v[26:27], v[94:95], v[122:123]
	;; [unrolled: 1-line block ×3, first 2 shown]
	v_mul_f64_e32 v[202:203], s[14:15], v[28:29]
	v_add_f64_e32 v[14:15], v[114:115], v[118:119]
	v_add_f64_e32 v[60:61], v[76:77], v[60:61]
	;; [unrolled: 1-line block ×3, first 2 shown]
	v_mul_f64_e32 v[66:67], s[22:23], v[174:175]
	v_mul_f64_e32 v[76:77], s[0:1], v[174:175]
	;; [unrolled: 1-line block ×3, first 2 shown]
	v_fma_f64 v[10:11], v[158:159], s[36:37], v[48:49]
	v_fma_f64 v[48:49], v[158:159], s[36:37], -v[48:49]
	v_add_f64_e32 v[4:5], v[4:5], v[42:43]
	v_mul_f64_e32 v[196:197], s[0:1], v[38:39]
	v_add_f64_e32 v[44:45], v[44:45], v[176:177]
	v_mul_f64_e32 v[176:177], s[16:17], v[164:165]
	v_add_f64_e32 v[60:61], v[60:61], v[86:87]
	v_add_f64_e32 v[56:57], v[56:57], v[84:85]
	v_mul_f64_e32 v[84:85], s[16:17], v[174:175]
	v_add_f64_e32 v[4:5], v[10:11], v[4:5]
	v_fma_f64 v[10:11], v[152:153], s[36:37], -v[50:51]
	v_add_f64_e32 v[44:45], v[48:49], v[44:45]
	v_fma_f64 v[48:49], v[152:153], s[36:37], v[50:51]
	v_fma_f64 v[50:51], v[154:155], s[44:45], v[212:213]
	;; [unrolled: 1-line block ×3, first 2 shown]
	v_fma_f64 v[176:177], v[158:159], s[44:45], -v[176:177]
	v_add_f64_e32 v[60:61], v[60:61], v[94:95]
	v_add_f64_e32 v[56:57], v[56:57], v[92:93]
	v_fma_f64 v[94:95], v[172:173], s[34:35], v[66:67]
	v_fma_f64 v[66:67], v[172:173], s[34:35], -v[66:67]
	v_add_f64_e32 v[8:9], v[10:11], v[8:9]
	v_fma_f64 v[10:11], v[148:149], s[38:39], v[52:53]
	v_add_f64_e32 v[46:47], v[48:49], v[46:47]
	v_fma_f64 v[48:49], v[148:149], s[38:39], -v[52:53]
	v_mul_f64_e32 v[52:53], s[14:15], v[174:175]
	v_add_f64_e32 v[60:61], v[60:61], v[114:115]
	v_add_f64_e32 v[56:57], v[56:57], v[96:97]
	;; [unrolled: 1-line block ×4, first 2 shown]
	v_fma_f64 v[10:11], v[62:63], s[38:39], -v[54:55]
	v_add_f64_e32 v[44:45], v[48:49], v[44:45]
	v_fma_f64 v[48:49], v[62:63], s[38:39], v[54:55]
	v_mul_f64_e32 v[54:55], s[14:15], v[168:169]
	v_add_f64_e32 v[60:61], v[60:61], v[106:107]
	v_add_f64_e32 v[56:57], v[56:57], v[108:109]
	v_add_f64_e32 v[8:9], v[10:11], v[8:9]
	v_fma_f64 v[10:11], v[34:35], s[40:41], v[196:197]
	v_add_f64_e32 v[46:47], v[48:49], v[46:47]
	v_fma_f64 v[48:49], v[34:35], s[40:41], -v[196:197]
	v_add_f64_e32 v[60:61], v[60:61], v[112:113]
	v_add_f64_e32 v[56:57], v[56:57], v[104:105]
	;; [unrolled: 1-line block ×3, first 2 shown]
	v_fma_f64 v[10:11], v[32:33], s[40:41], -v[198:199]
	v_add_f64_e32 v[44:45], v[48:49], v[44:45]
	v_fma_f64 v[48:49], v[32:33], s[40:41], v[198:199]
	v_add_f64_e32 v[60:61], v[60:61], v[118:119]
	v_add_f64_e32 v[56:57], v[56:57], v[98:99]
	;; [unrolled: 1-line block ×3, first 2 shown]
	v_fma_f64 v[10:11], v[26:27], s[42:43], v[200:201]
	v_add_f64_e32 v[46:47], v[48:49], v[46:47]
	v_fma_f64 v[48:49], v[26:27], s[42:43], -v[200:201]
	v_add_f64_e32 v[60:61], v[60:61], v[122:123]
	v_add_f64_e32 v[56:57], v[56:57], v[58:59]
	;; [unrolled: 1-line block ×3, first 2 shown]
	v_fma_f64 v[10:11], v[20:21], s[42:43], -v[202:203]
	v_add_f64_e32 v[44:45], v[48:49], v[44:45]
	v_fma_f64 v[48:49], v[20:21], s[42:43], v[202:203]
	v_add_f64_e32 v[24:25], v[60:61], v[24:25]
	v_add_f64_e32 v[22:23], v[56:57], v[22:23]
	v_mul_f64_e32 v[60:61], s[22:23], v[168:169]
	v_add_f64_e32 v[8:9], v[10:11], v[8:9]
	v_fma_f64 v[10:11], v[14:15], s[46:47], v[204:205]
	v_add_f64_e32 v[46:47], v[48:49], v[46:47]
	v_fma_f64 v[48:49], v[14:15], s[46:47], -v[204:205]
	v_add_f64_e32 v[12:13], v[24:25], v[12:13]
	v_fma_f64 v[114:115], v[166:167], s[34:35], -v[60:61]
	v_fma_f64 v[60:61], v[166:167], s[34:35], v[60:61]
	v_add_f64_e32 v[6:7], v[22:23], v[6:7]
	v_add_f64_e32 v[40:41], v[10:11], v[4:5]
	;; [unrolled: 1-line block ×3, first 2 shown]
	v_fma_f64 v[96:97], v[172:173], s[40:41], -v[76:77]
	v_fma_f64 v[98:99], v[172:173], s[44:45], -v[84:85]
	v_fma_f64 v[76:77], v[172:173], s[40:41], v[76:77]
	v_fma_f64 v[84:85], v[172:173], s[44:45], v[84:85]
	v_add_f64_e32 v[44:45], v[48:49], v[44:45]
	v_add_f64_e32 v[2:3], v[12:13], v[2:3]
	;; [unrolled: 1-line block ×4, first 2 shown]
	v_fma_f64 v[4:5], v[10:11], s[46:47], -v[206:207]
	v_fma_f64 v[48:49], v[10:11], s[46:47], v[206:207]
	v_add_f64_e32 v[76:77], v[76:77], v[136:137]
	v_add_f64_e32 v[84:85], v[84:85], v[144:145]
	;; [unrolled: 1-line block ×5, first 2 shown]
	v_add_f64_e64 v[8:9], v[108:109], -v[104:105]
	v_add_f64_e32 v[4:5], v[106:107], v[112:113]
	v_add_f64_e32 v[48:49], v[48:49], v[46:47]
	v_mul_f64_e32 v[106:107], s[0:1], v[168:169]
	v_mul_f64_e32 v[108:109], s[16:17], v[168:169]
	v_fma_f64 v[104:105], v[172:173], s[38:39], v[216:217]
	v_add_f64_e32 v[2:3], v[2:3], v[70:71]
	v_add_f64_e32 v[0:1], v[0:1], v[68:69]
	v_mul_f64_e32 v[210:211], s[20:21], v[8:9]
	v_mul_f64_e32 v[238:239], s[22:23], v[8:9]
	v_fma_f64 v[116:117], v[166:167], s[40:41], v[106:107]
	v_fma_f64 v[106:107], v[166:167], s[40:41], -v[106:107]
	v_fma_f64 v[118:119], v[166:167], s[44:45], v[108:109]
	v_fma_f64 v[108:109], v[166:167], s[44:45], -v[108:109]
	v_add_f64_e32 v[74:75], v[104:105], v[74:75]
	v_mul_f64_e32 v[104:105], s[12:13], v[150:151]
	v_fma_f64 v[46:47], v[4:5], s[44:45], -v[210:211]
	v_fma_f64 v[42:43], v[4:5], s[44:45], v[210:211]
	v_mul_f64_e32 v[210:211], s[24:25], v[8:9]
	v_add_f64_e32 v[78:79], v[106:107], v[142:143]
	v_mul_f64_e32 v[106:107], s[50:51], v[150:151]
	v_add_f64_e32 v[46:47], v[46:47], v[44:45]
	v_add_f64_e32 v[44:45], v[50:51], v[48:49]
	v_fma_f64 v[48:49], v[172:173], s[42:43], v[52:53]
	v_fma_f64 v[50:51], v[166:167], s[42:43], -v[54:55]
	v_fma_f64 v[52:53], v[172:173], s[42:43], -v[52:53]
	v_fma_f64 v[54:55], v[166:167], s[42:43], v[54:55]
	v_add_f64_e32 v[42:43], v[42:43], v[40:41]
	v_fma_f64 v[40:41], v[154:155], s[44:45], -v[212:213]
	v_mul_f64_e32 v[212:213], s[24:25], v[170:171]
	v_add_f64_e32 v[48:49], v[48:49], v[180:181]
	v_add_f64_e32 v[50:51], v[50:51], v[182:183]
	;; [unrolled: 1-line block ×4, first 2 shown]
	v_mul_f64_e32 v[184:185], s[50:51], v[174:175]
	v_mul_f64_e32 v[186:187], s[50:51], v[168:169]
	v_add_f64_e32 v[40:41], v[40:41], v[208:209]
	v_add_f64_e32 v[48:49], v[178:179], v[48:49]
	v_mul_f64_e32 v[178:179], s[16:17], v[156:157]
	v_add_f64_e32 v[52:53], v[176:177], v[52:53]
	v_fma_f64 v[86:87], v[172:173], s[46:47], -v[184:185]
	v_fma_f64 v[110:111], v[166:167], s[46:47], v[186:187]
	s_delay_alu instid0(VALU_DEP_4)
	v_fma_f64 v[180:181], v[152:153], s[44:45], -v[178:179]
	v_fma_f64 v[176:177], v[152:153], s[44:45], v[178:179]
	v_fma_f64 v[178:179], v[154:155], s[46:47], v[212:213]
	v_add_f64_e32 v[86:87], v[86:87], v[134:135]
	v_mul_f64_e32 v[134:135], s[8:9], v[156:157]
	v_add_f64_e32 v[110:111], v[110:111], v[126:127]
	v_add_f64_e32 v[50:51], v[180:181], v[50:51]
	v_mul_f64_e32 v[180:181], s[48:49], v[150:151]
	v_add_f64_e32 v[54:55], v[176:177], v[54:55]
	s_delay_alu instid0(VALU_DEP_2) | instskip(SKIP_1) | instid1(VALU_DEP_2)
	v_fma_f64 v[182:183], v[148:149], s[40:41], v[180:181]
	v_fma_f64 v[176:177], v[148:149], s[40:41], -v[180:181]
	v_add_f64_e32 v[48:49], v[182:183], v[48:49]
	v_mul_f64_e32 v[182:183], s[48:49], v[64:65]
	s_delay_alu instid0(VALU_DEP_3) | instskip(NEXT) | instid1(VALU_DEP_2)
	v_add_f64_e32 v[52:53], v[176:177], v[52:53]
	v_fma_f64 v[196:197], v[62:63], s[40:41], -v[182:183]
	v_fma_f64 v[176:177], v[62:63], s[40:41], v[182:183]
	s_delay_alu instid0(VALU_DEP_2) | instskip(SKIP_1) | instid1(VALU_DEP_3)
	v_add_f64_e32 v[50:51], v[196:197], v[50:51]
	v_mul_f64_e32 v[196:197], s[18:19], v[38:39]
	v_add_f64_e32 v[54:55], v[176:177], v[54:55]
	s_delay_alu instid0(VALU_DEP_2) | instskip(SKIP_2) | instid1(VALU_DEP_3)
	v_fma_f64 v[198:199], v[34:35], s[30:31], v[196:197]
	v_fma_f64 v[176:177], v[34:35], s[30:31], -v[196:197]
	v_mul_f64_e32 v[196:197], s[10:11], v[150:151]
	v_add_f64_e32 v[48:49], v[198:199], v[48:49]
	v_mul_f64_e32 v[198:199], s[18:19], v[36:37]
	s_delay_alu instid0(VALU_DEP_4) | instskip(NEXT) | instid1(VALU_DEP_2)
	v_add_f64_e32 v[52:53], v[176:177], v[52:53]
	v_fma_f64 v[200:201], v[32:33], s[30:31], -v[198:199]
	v_fma_f64 v[176:177], v[32:33], s[30:31], v[198:199]
	v_mul_f64_e32 v[198:199], s[10:11], v[64:65]
	s_delay_alu instid0(VALU_DEP_3) | instskip(SKIP_1) | instid1(VALU_DEP_4)
	v_add_f64_e32 v[50:51], v[200:201], v[50:51]
	v_mul_f64_e32 v[200:201], s[22:23], v[30:31]
	v_add_f64_e32 v[54:55], v[176:177], v[54:55]
	s_delay_alu instid0(VALU_DEP_2) | instskip(SKIP_2) | instid1(VALU_DEP_3)
	v_fma_f64 v[202:203], v[26:27], s[34:35], v[200:201]
	v_fma_f64 v[176:177], v[26:27], s[34:35], -v[200:201]
	v_mul_f64_e32 v[200:201], s[20:21], v[38:39]
	v_add_f64_e32 v[48:49], v[202:203], v[48:49]
	v_mul_f64_e32 v[202:203], s[22:23], v[28:29]
	s_delay_alu instid0(VALU_DEP_4) | instskip(NEXT) | instid1(VALU_DEP_2)
	v_add_f64_e32 v[52:53], v[176:177], v[52:53]
	v_fma_f64 v[204:205], v[20:21], s[34:35], -v[202:203]
	v_fma_f64 v[176:177], v[20:21], s[34:35], v[202:203]
	v_mul_f64_e32 v[202:203], s[20:21], v[36:37]
	s_delay_alu instid0(VALU_DEP_3) | instskip(SKIP_1) | instid1(VALU_DEP_4)
	v_add_f64_e32 v[50:51], v[204:205], v[50:51]
	v_mul_f64_e32 v[204:205], s[8:9], v[18:19]
	v_add_f64_e32 v[54:55], v[176:177], v[54:55]
	s_delay_alu instid0(VALU_DEP_2) | instskip(SKIP_2) | instid1(VALU_DEP_3)
	v_fma_f64 v[206:207], v[14:15], s[38:39], v[204:205]
	v_fma_f64 v[176:177], v[14:15], s[38:39], -v[204:205]
	v_mul_f64_e32 v[204:205], s[28:29], v[30:31]
	v_add_f64_e32 v[48:49], v[206:207], v[48:49]
	v_mul_f64_e32 v[206:207], s[8:9], v[16:17]
	s_delay_alu instid0(VALU_DEP_4) | instskip(NEXT) | instid1(VALU_DEP_2)
	v_add_f64_e32 v[52:53], v[176:177], v[52:53]
	v_fma_f64 v[176:177], v[10:11], s[38:39], v[206:207]
	v_fma_f64 v[208:209], v[10:11], s[38:39], -v[206:207]
	v_mul_f64_e32 v[206:207], s[28:29], v[28:29]
	s_delay_alu instid0(VALU_DEP_3) | instskip(SKIP_1) | instid1(VALU_DEP_4)
	v_add_f64_e32 v[176:177], v[176:177], v[54:55]
	v_fma_f64 v[54:55], v[4:5], s[46:47], -v[210:211]
	v_add_f64_e32 v[208:209], v[208:209], v[50:51]
	v_fma_f64 v[50:51], v[4:5], s[46:47], v[210:211]
	v_mul_f64_e32 v[210:211], s[22:23], v[16:17]
	s_delay_alu instid0(VALU_DEP_4)
	v_add_f64_e32 v[54:55], v[54:55], v[52:53]
	v_add_f64_e32 v[52:53], v[178:179], v[176:177]
	v_fma_f64 v[176:177], v[172:173], s[46:47], v[184:185]
	v_fma_f64 v[178:179], v[166:167], s[46:47], -v[186:187]
	v_add_f64_e32 v[50:51], v[50:51], v[48:49]
	v_fma_f64 v[48:49], v[154:155], s[46:47], -v[212:213]
	v_mul_f64_e32 v[212:213], s[14:15], v[8:9]
	v_add_f64_e32 v[176:177], v[176:177], v[188:189]
	v_mul_f64_e32 v[188:189], s[18:19], v[164:165]
	v_add_f64_e32 v[178:179], v[178:179], v[190:191]
	;; [unrolled: 2-line block ×3, first 2 shown]
	v_mul_f64_e32 v[208:209], s[22:23], v[18:19]
	v_fma_f64 v[180:181], v[158:159], s[30:31], v[188:189]
	s_delay_alu instid0(VALU_DEP_1) | instskip(SKIP_2) | instid1(VALU_DEP_2)
	v_add_f64_e32 v[176:177], v[180:181], v[176:177]
	v_fma_f64 v[180:181], v[152:153], s[30:31], -v[190:191]
	v_fma_f64 v[190:191], v[152:153], s[30:31], v[190:191]
	v_add_f64_e32 v[178:179], v[180:181], v[178:179]
	v_fma_f64 v[180:181], v[148:149], s[36:37], v[196:197]
	s_delay_alu instid0(VALU_DEP_3) | instskip(NEXT) | instid1(VALU_DEP_2)
	v_add_f64_e32 v[110:111], v[190:191], v[110:111]
	v_add_f64_e32 v[176:177], v[180:181], v[176:177]
	v_fma_f64 v[180:181], v[62:63], s[36:37], -v[198:199]
	s_delay_alu instid0(VALU_DEP_1) | instskip(SKIP_1) | instid1(VALU_DEP_1)
	v_add_f64_e32 v[178:179], v[180:181], v[178:179]
	v_fma_f64 v[180:181], v[34:35], s[44:45], v[200:201]
	v_add_f64_e32 v[176:177], v[180:181], v[176:177]
	v_fma_f64 v[180:181], v[32:33], s[44:45], -v[202:203]
	s_delay_alu instid0(VALU_DEP_1) | instskip(SKIP_1) | instid1(VALU_DEP_1)
	v_add_f64_e32 v[178:179], v[180:181], v[178:179]
	v_fma_f64 v[180:181], v[26:27], s[38:39], v[204:205]
	v_add_f64_e32 v[176:177], v[180:181], v[176:177]
	v_fma_f64 v[180:181], v[20:21], s[38:39], -v[206:207]
	s_delay_alu instid0(VALU_DEP_1) | instskip(SKIP_1) | instid1(VALU_DEP_1)
	v_add_f64_e32 v[178:179], v[180:181], v[178:179]
	v_fma_f64 v[180:181], v[14:15], s[34:35], v[208:209]
	v_add_f64_e32 v[176:177], v[180:181], v[176:177]
	v_fma_f64 v[180:181], v[10:11], s[34:35], -v[210:211]
	s_delay_alu instid0(VALU_DEP_1) | instskip(SKIP_1) | instid1(VALU_DEP_1)
	v_add_f64_e32 v[180:181], v[180:181], v[178:179]
	v_fma_f64 v[178:179], v[4:5], s[42:43], v[212:213]
	v_add_f64_e32 v[178:179], v[178:179], v[176:177]
	v_fma_f64 v[176:177], v[154:155], s[42:43], -v[214:215]
	s_delay_alu instid0(VALU_DEP_1) | instskip(SKIP_1) | instid1(VALU_DEP_1)
	v_add_f64_e32 v[176:177], v[176:177], v[180:181]
	v_fma_f64 v[180:181], v[172:173], s[38:39], -v[216:217]
	v_add_f64_e32 v[180:181], v[180:181], v[192:193]
	v_mul_f64_e32 v[192:193], s[28:29], v[168:169]
	s_mov_b32 s29, 0x3fc7851a
	s_mov_b32 s28, s22
	s_delay_alu instid0(VALU_DEP_1) | instskip(SKIP_3) | instid1(VALU_DEP_3)
	v_fma_f64 v[182:183], v[166:167], s[38:39], v[192:193]
	v_fma_f64 v[122:123], v[166:167], s[38:39], -v[192:193]
	s_wait_alu 0xfffe
	v_mul_f64_e32 v[192:193], s[28:29], v[156:157]
	v_add_f64_e32 v[182:183], v[182:183], v[194:195]
	v_mul_f64_e32 v[194:195], s[26:27], v[164:165]
	s_delay_alu instid0(VALU_DEP_4) | instskip(NEXT) | instid1(VALU_DEP_2)
	v_add_f64_e32 v[72:73], v[122:123], v[72:73]
	v_fma_f64 v[218:219], v[158:159], s[42:43], -v[194:195]
	s_delay_alu instid0(VALU_DEP_1) | instskip(SKIP_1) | instid1(VALU_DEP_1)
	v_add_f64_e32 v[180:181], v[218:219], v[180:181]
	v_mul_f64_e32 v[218:219], s[26:27], v[156:157]
	v_fma_f64 v[220:221], v[152:153], s[42:43], v[218:219]
	s_delay_alu instid0(VALU_DEP_1) | instskip(SKIP_1) | instid1(VALU_DEP_1)
	v_add_f64_e32 v[182:183], v[220:221], v[182:183]
	v_mul_f64_e32 v[220:221], s[16:17], v[150:151]
	v_fma_f64 v[222:223], v[148:149], s[44:45], -v[220:221]
	v_fma_f64 v[124:125], v[148:149], s[44:45], v[220:221]
	s_delay_alu instid0(VALU_DEP_2) | instskip(SKIP_1) | instid1(VALU_DEP_1)
	v_add_f64_e32 v[180:181], v[222:223], v[180:181]
	v_mul_f64_e32 v[222:223], s[16:17], v[64:65]
	v_fma_f64 v[224:225], v[62:63], s[44:45], v[222:223]
	s_delay_alu instid0(VALU_DEP_1) | instskip(SKIP_1) | instid1(VALU_DEP_1)
	v_add_f64_e32 v[182:183], v[224:225], v[182:183]
	v_mul_f64_e32 v[224:225], s[24:25], v[38:39]
	v_fma_f64 v[226:227], v[34:35], s[46:47], -v[224:225]
	s_delay_alu instid0(VALU_DEP_1)
	v_add_f64_e32 v[180:181], v[226:227], v[180:181]
	v_mul_f64_e32 v[226:227], s[24:25], v[36:37]
	s_mov_b32 s25, 0x3fe0d888
	s_mov_b32 s24, s10
	s_wait_alu 0xfffe
	v_mul_f64_e32 v[58:59], s[24:25], v[174:175]
	v_mul_f64_e32 v[56:57], s[24:25], v[168:169]
	v_fma_f64 v[168:169], v[158:159], s[30:31], -v[188:189]
	v_mul_f64_e32 v[188:189], s[50:51], v[156:157]
	v_mul_f64_e32 v[156:157], s[0:1], v[156:157]
	v_fma_f64 v[174:175], v[158:159], s[46:47], v[162:163]
	v_fma_f64 v[162:163], v[158:159], s[46:47], -v[162:163]
	v_fma_f64 v[228:229], v[32:33], s[46:47], v[226:227]
	v_fma_f64 v[92:93], v[172:173], s[36:37], v[58:59]
	v_fma_f64 v[58:59], v[172:173], s[36:37], -v[58:59]
	v_fma_f64 v[112:113], v[166:167], s[36:37], -v[56:57]
	v_fma_f64 v[56:57], v[166:167], s[36:37], v[56:57]
	v_mul_f64_e32 v[166:167], s[28:29], v[164:165]
	v_mul_f64_e32 v[164:165], s[0:1], v[164:165]
	v_fma_f64 v[172:173], v[158:159], s[38:39], v[160:161]
	v_fma_f64 v[160:161], v[158:159], s[38:39], -v[160:161]
	v_fma_f64 v[216:217], v[152:153], s[46:47], -v[188:189]
	v_fma_f64 v[242:243], v[152:153], s[40:41], v[156:157]
	v_fma_f64 v[156:157], v[152:153], s[40:41], -v[156:157]
	v_add_f64_e32 v[86:87], v[168:169], v[86:87]
	v_fma_f64 v[188:189], v[152:153], s[46:47], v[188:189]
	v_add_f64_e32 v[182:183], v[228:229], v[182:183]
	v_mul_f64_e32 v[228:229], s[0:1], v[30:31]
	v_add_f64_e32 v[92:93], v[92:93], v[128:129]
	v_add_f64_e32 v[24:25], v[58:59], v[82:83]
	;; [unrolled: 1-line block ×4, first 2 shown]
	v_fma_f64 v[184:185], v[158:159], s[34:35], -v[166:167]
	v_fma_f64 v[166:167], v[158:159], s[34:35], v[166:167]
	v_fma_f64 v[186:187], v[158:159], s[40:41], -v[164:165]
	v_fma_f64 v[164:165], v[158:159], s[40:41], v[164:165]
	v_fma_f64 v[158:159], v[158:159], s[42:43], v[194:195]
	v_fma_f64 v[194:195], v[152:153], s[38:39], -v[134:135]
	v_fma_f64 v[134:135], v[152:153], s[38:39], v[134:135]
	v_add_f64_e32 v[58:59], v[94:95], v[90:91]
	v_add_f64_e32 v[80:81], v[114:115], v[120:121]
	;; [unrolled: 1-line block ×7, first 2 shown]
	v_fma_f64 v[112:113], v[148:149], s[36:37], -v[196:197]
	v_mul_f64_e32 v[98:99], s[26:27], v[150:151]
	v_fma_f64 v[116:117], v[148:149], s[30:31], v[104:105]
	v_mul_f64_e32 v[108:109], s[22:23], v[150:151]
	v_fma_f64 v[118:119], v[148:149], s[46:47], -v[106:107]
	v_fma_f64 v[106:107], v[148:149], s[46:47], v[106:107]
	v_add_f64_e32 v[60:61], v[188:189], v[60:61]
	v_fma_f64 v[104:105], v[148:149], s[30:31], -v[104:105]
	v_fma_f64 v[230:231], v[26:27], s[40:41], -v[228:229]
	v_add_f64_e32 v[92:93], v[172:173], v[92:93]
	v_add_f64_e32 v[24:25], v[160:161], v[24:25]
	;; [unrolled: 1-line block ×14, first 2 shown]
	v_mul_f64_e32 v[96:97], s[26:27], v[64:65]
	v_add_f64_e32 v[86:87], v[112:113], v[86:87]
	v_fma_f64 v[114:115], v[148:149], s[42:43], v[98:99]
	v_fma_f64 v[98:99], v[148:149], s[42:43], -v[98:99]
	v_mul_f64_e32 v[112:113], s[50:51], v[64:65]
	v_fma_f64 v[120:121], v[148:149], s[34:35], -v[108:109]
	v_fma_f64 v[108:109], v[148:149], s[34:35], v[108:109]
	v_add_f64_e32 v[180:181], v[230:231], v[180:181]
	v_mul_f64_e32 v[230:231], s[0:1], v[28:29]
	v_add_f64_e32 v[74:75], v[124:125], v[74:75]
	v_add_f64_e32 v[12:13], v[116:117], v[12:13]
	v_add_f64_e32 v[58:59], v[104:105], v[58:59]
	v_add_f64_e32 v[66:67], v[118:119], v[66:67]
	v_add_f64_e32 v[92:93], v[114:115], v[92:93]
	v_add_f64_e32 v[24:25], v[98:99], v[24:25]
	v_fma_f64 v[116:117], v[62:63], s[46:47], v[112:113]
	v_fma_f64 v[112:113], v[62:63], s[46:47], -v[112:113]
	v_add_f64_e32 v[80:81], v[120:121], v[80:81]
	v_fma_f64 v[232:233], v[20:21], s[40:41], v[230:231]
	s_delay_alu instid0(VALU_DEP_1) | instskip(SKIP_1) | instid1(VALU_DEP_1)
	v_add_f64_e32 v[182:183], v[232:233], v[182:183]
	v_mul_f64_e32 v[232:233], s[10:11], v[18:19]
	v_fma_f64 v[234:235], v[14:15], s[36:37], -v[232:233]
	s_delay_alu instid0(VALU_DEP_1) | instskip(SKIP_1) | instid1(VALU_DEP_1)
	v_add_f64_e32 v[180:181], v[234:235], v[180:181]
	v_mul_f64_e32 v[234:235], s[10:11], v[16:17]
	v_fma_f64 v[236:237], v[10:11], s[36:37], v[234:235]
	s_delay_alu instid0(VALU_DEP_1) | instskip(SKIP_1) | instid1(VALU_DEP_1)
	v_add_f64_e32 v[236:237], v[236:237], v[182:183]
	v_fma_f64 v[182:183], v[4:5], s[34:35], -v[238:239]
	v_add_f64_e32 v[182:183], v[182:183], v[180:181]
	v_fma_f64 v[180:181], v[154:155], s[34:35], v[240:241]
	s_delay_alu instid0(VALU_DEP_1) | instskip(SKIP_3) | instid1(VALU_DEP_3)
	v_add_f64_e32 v[180:181], v[180:181], v[236:237]
	v_fma_f64 v[236:237], v[152:153], s[34:35], v[192:193]
	v_fma_f64 v[192:193], v[152:153], s[34:35], -v[192:193]
	v_fma_f64 v[152:153], v[152:153], s[42:43], -v[218:219]
	v_add_f64_e32 v[88:89], v[236:237], v[94:95]
	v_fma_f64 v[94:95], v[62:63], s[36:37], v[198:199]
	s_delay_alu instid0(VALU_DEP_4) | instskip(NEXT) | instid1(VALU_DEP_4)
	v_add_f64_e32 v[78:79], v[192:193], v[78:79]
	v_add_f64_e32 v[72:73], v[152:153], v[72:73]
	s_delay_alu instid0(VALU_DEP_4) | instskip(NEXT) | instid1(VALU_DEP_4)
	v_add_f64_e32 v[88:89], v[116:117], v[88:89]
	v_add_f64_e32 v[94:95], v[94:95], v[110:111]
	v_fma_f64 v[110:111], v[62:63], s[42:43], -v[96:97]
	v_fma_f64 v[96:97], v[62:63], s[42:43], v[96:97]
	s_delay_alu instid0(VALU_DEP_2) | instskip(NEXT) | instid1(VALU_DEP_2)
	v_add_f64_e32 v[22:23], v[110:111], v[22:23]
	v_add_f64_e32 v[6:7], v[96:97], v[6:7]
	v_fma_f64 v[96:97], v[34:35], s[44:45], -v[200:201]
	s_delay_alu instid0(VALU_DEP_1) | instskip(SKIP_1) | instid1(VALU_DEP_1)
	v_add_f64_e32 v[86:87], v[96:97], v[86:87]
	v_fma_f64 v[96:97], v[32:33], s[44:45], v[202:203]
	v_add_f64_e32 v[94:95], v[96:97], v[94:95]
	v_mul_f64_e32 v[96:97], s[22:23], v[38:39]
	s_delay_alu instid0(VALU_DEP_1) | instskip(SKIP_1) | instid1(VALU_DEP_2)
	v_fma_f64 v[98:99], v[34:35], s[34:35], v[96:97]
	v_fma_f64 v[96:97], v[34:35], s[34:35], -v[96:97]
	v_add_f64_e32 v[92:93], v[98:99], v[92:93]
	v_mul_f64_e32 v[98:99], s[22:23], v[36:37]
	s_delay_alu instid0(VALU_DEP_3) | instskip(NEXT) | instid1(VALU_DEP_2)
	v_add_f64_e32 v[24:25], v[96:97], v[24:25]
	v_fma_f64 v[96:97], v[32:33], s[34:35], v[98:99]
	v_fma_f64 v[110:111], v[32:33], s[34:35], -v[98:99]
	s_delay_alu instid0(VALU_DEP_2) | instskip(SKIP_1) | instid1(VALU_DEP_3)
	v_add_f64_e32 v[6:7], v[96:97], v[6:7]
	v_mul_f64_e32 v[96:97], s[26:27], v[38:39]
	v_add_f64_e32 v[22:23], v[110:111], v[22:23]
	s_delay_alu instid0(VALU_DEP_2) | instskip(NEXT) | instid1(VALU_DEP_1)
	v_fma_f64 v[98:99], v[34:35], s[42:43], v[96:97]
	v_add_f64_e32 v[12:13], v[98:99], v[12:13]
	v_fma_f64 v[98:99], v[26:27], s[38:39], -v[204:205]
	s_delay_alu instid0(VALU_DEP_1) | instskip(SKIP_1) | instid1(VALU_DEP_1)
	v_add_f64_e32 v[86:87], v[98:99], v[86:87]
	v_fma_f64 v[98:99], v[20:21], s[38:39], v[206:207]
	v_add_f64_e32 v[94:95], v[98:99], v[94:95]
	v_mul_f64_e32 v[98:99], s[20:21], v[30:31]
	s_delay_alu instid0(VALU_DEP_1) | instskip(SKIP_1) | instid1(VALU_DEP_2)
	v_fma_f64 v[100:101], v[26:27], s[44:45], v[98:99]
	v_fma_f64 v[98:99], v[26:27], s[44:45], -v[98:99]
	v_add_f64_e32 v[92:93], v[100:101], v[92:93]
	v_mul_f64_e32 v[100:101], s[20:21], v[28:29]
	s_delay_alu instid0(VALU_DEP_3) | instskip(NEXT) | instid1(VALU_DEP_2)
	v_add_f64_e32 v[24:25], v[98:99], v[24:25]
	v_fma_f64 v[98:99], v[20:21], s[44:45], v[100:101]
	v_fma_f64 v[102:103], v[20:21], s[44:45], -v[100:101]
	s_delay_alu instid0(VALU_DEP_2) | instskip(SKIP_1) | instid1(VALU_DEP_3)
	v_add_f64_e32 v[6:7], v[98:99], v[6:7]
	v_mul_f64_e32 v[98:99], s[10:11], v[30:31]
	v_add_f64_e32 v[22:23], v[102:103], v[22:23]
	s_delay_alu instid0(VALU_DEP_2) | instskip(NEXT) | instid1(VALU_DEP_1)
	v_fma_f64 v[100:101], v[26:27], s[36:37], v[98:99]
	v_add_f64_e32 v[12:13], v[100:101], v[12:13]
	v_fma_f64 v[100:101], v[14:15], s[34:35], -v[208:209]
	s_delay_alu instid0(VALU_DEP_1) | instskip(SKIP_1) | instid1(VALU_DEP_1)
	v_add_f64_e32 v[86:87], v[100:101], v[86:87]
	v_fma_f64 v[100:101], v[10:11], s[34:35], v[210:211]
	v_add_f64_e32 v[94:95], v[100:101], v[94:95]
	v_mul_f64_e32 v[100:101], s[18:19], v[18:19]
	s_delay_alu instid0(VALU_DEP_1) | instskip(NEXT) | instid1(VALU_DEP_1)
	v_fma_f64 v[102:103], v[14:15], s[30:31], v[100:101]
	v_add_f64_e32 v[92:93], v[102:103], v[92:93]
	v_mul_f64_e32 v[102:103], s[18:19], v[16:17]
	s_delay_alu instid0(VALU_DEP_1) | instskip(NEXT) | instid1(VALU_DEP_1)
	v_fma_f64 v[110:111], v[10:11], s[30:31], -v[102:103]
	v_add_f64_e32 v[110:111], v[110:111], v[22:23]
	v_mul_f64_e32 v[22:23], s[12:13], v[64:65]
	v_mul_f64_e32 v[64:65], s[22:23], v[64:65]
	s_delay_alu instid0(VALU_DEP_2) | instskip(SKIP_1) | instid1(VALU_DEP_3)
	v_fma_f64 v[114:115], v[62:63], s[30:31], -v[22:23]
	v_fma_f64 v[22:23], v[62:63], s[30:31], v[22:23]
	v_fma_f64 v[122:123], v[62:63], s[34:35], v[64:65]
	v_fma_f64 v[64:65], v[62:63], s[34:35], -v[64:65]
	v_fma_f64 v[62:63], v[62:63], s[44:45], -v[222:223]
	v_add_f64_e32 v[56:57], v[114:115], v[56:57]
	v_add_f64_e32 v[22:23], v[22:23], v[60:61]
	;; [unrolled: 1-line block ×5, first 2 shown]
	v_mul_f64_e32 v[84:85], s[8:9], v[38:39]
	v_mul_f64_e32 v[38:39], s[24:25], v[38:39]
	;; [unrolled: 1-line block ×5, first 2 shown]
	v_add_f64_e32 v[64:65], v[64:65], v[90:91]
	v_fma_f64 v[90:91], v[34:35], s[42:43], -v[96:97]
	v_add_f64_e32 v[82:83], v[122:123], v[82:83]
	v_add_f64_e32 v[62:63], v[62:63], v[72:73]
	v_fma_f64 v[96:97], v[34:35], s[38:39], -v[84:85]
	v_fma_f64 v[84:85], v[34:35], s[38:39], v[84:85]
	v_fma_f64 v[104:105], v[34:35], s[36:37], -v[38:39]
	v_fma_f64 v[38:39], v[34:35], s[36:37], v[38:39]
	v_fma_f64 v[34:35], v[34:35], s[46:47], v[224:225]
	;; [unrolled: 1-line block ×3, first 2 shown]
	v_fma_f64 v[36:37], v[32:33], s[36:37], -v[36:37]
	v_fma_f64 v[112:113], v[32:33], s[42:43], -v[106:107]
	v_fma_f64 v[106:107], v[32:33], s[42:43], v[106:107]
	v_fma_f64 v[114:115], v[32:33], s[38:39], v[108:109]
	v_fma_f64 v[108:109], v[32:33], s[38:39], -v[108:109]
	v_add_f64_e32 v[58:59], v[90:91], v[58:59]
	v_mul_f64_e32 v[90:91], s[18:19], v[28:29]
	v_fma_f64 v[32:33], v[32:33], s[46:47], -v[226:227]
	v_add_f64_e32 v[66:67], v[96:97], v[66:67]
	v_add_f64_e32 v[60:61], v[84:85], v[60:61]
	;; [unrolled: 1-line block ×5, first 2 shown]
	v_mul_f64_e32 v[74:75], s[10:11], v[28:29]
	v_add_f64_e32 v[36:37], v[36:37], v[64:65]
	v_mul_f64_e32 v[64:65], s[18:19], v[30:31]
	v_mul_f64_e32 v[30:31], s[50:51], v[30:31]
	v_add_f64_e32 v[22:23], v[106:107], v[22:23]
	v_mul_f64_e32 v[28:29], s[50:51], v[28:29]
	v_add_f64_e32 v[80:81], v[116:117], v[82:83]
	v_add_f64_e32 v[82:83], v[114:115], v[88:89]
	;; [unrolled: 1-line block ×3, first 2 shown]
	v_fma_f64 v[78:79], v[26:27], s[36:37], -v[98:99]
	v_fma_f64 v[98:99], v[20:21], s[30:31], v[90:91]
	v_fma_f64 v[90:91], v[20:21], s[30:31], -v[90:91]
	v_add_f64_e32 v[32:33], v[32:33], v[62:63]
	v_add_f64_e32 v[56:57], v[112:113], v[56:57]
	v_fma_f64 v[96:97], v[20:21], s[36:37], -v[74:75]
	v_fma_f64 v[74:75], v[20:21], s[36:37], v[74:75]
	v_fma_f64 v[84:85], v[26:27], s[30:31], -v[64:65]
	v_fma_f64 v[88:89], v[26:27], s[46:47], -v[30:31]
	v_fma_f64 v[30:31], v[26:27], s[46:47], v[30:31]
	v_fma_f64 v[64:65], v[26:27], s[30:31], v[64:65]
	v_fma_f64 v[26:27], v[26:27], s[40:41], v[228:229]
	v_fma_f64 v[104:105], v[20:21], s[46:47], v[28:29]
	v_fma_f64 v[28:29], v[20:21], s[46:47], -v[28:29]
	v_fma_f64 v[20:21], v[20:21], s[40:41], -v[230:231]
	v_add_f64_e32 v[58:59], v[78:79], v[58:59]
	v_add_f64_e32 v[78:79], v[98:99], v[82:83]
	;; [unrolled: 1-line block ×4, first 2 shown]
	v_mul_f64_e32 v[74:75], s[48:49], v[18:19]
	v_add_f64_e32 v[62:63], v[84:85], v[66:67]
	v_add_f64_e32 v[30:31], v[30:31], v[38:39]
	v_mul_f64_e32 v[38:39], s[16:17], v[18:19]
	v_mul_f64_e32 v[18:19], s[14:15], v[18:19]
	v_add_f64_e32 v[66:67], v[88:89], v[72:73]
	v_add_f64_e32 v[60:61], v[64:65], v[60:61]
	;; [unrolled: 1-line block ×4, first 2 shown]
	v_fma_f64 v[36:37], v[14:15], s[30:31], -v[100:101]
	v_add_f64_e32 v[26:27], v[26:27], v[34:35]
	v_mul_f64_e32 v[34:35], s[48:49], v[16:17]
	v_mul_f64_e32 v[84:85], s[16:17], v[16:17]
	;; [unrolled: 1-line block ×3, first 2 shown]
	v_fma_f64 v[88:89], v[10:11], s[30:31], v[102:103]
	v_add_f64_e32 v[72:73], v[104:105], v[80:81]
	v_add_f64_e32 v[20:21], v[20:21], v[32:33]
	v_fma_f64 v[104:105], v[4:5], s[34:35], v[238:239]
	v_fma_f64 v[76:77], v[14:15], s[40:41], v[74:75]
	v_fma_f64 v[74:75], v[14:15], s[40:41], -v[74:75]
	v_fma_f64 v[80:81], v[14:15], s[44:45], -v[38:39]
	;; [unrolled: 1-line block ×3, first 2 shown]
	v_fma_f64 v[18:19], v[14:15], s[42:43], v[18:19]
	v_fma_f64 v[38:39], v[14:15], s[44:45], v[38:39]
	;; [unrolled: 1-line block ×3, first 2 shown]
	v_add_f64_e32 v[24:25], v[36:37], v[24:25]
	v_fma_f64 v[90:91], v[10:11], s[40:41], -v[34:35]
	v_fma_f64 v[34:35], v[10:11], s[40:41], v[34:35]
	v_fma_f64 v[98:99], v[10:11], s[42:43], v[16:17]
	v_fma_f64 v[16:17], v[10:11], s[42:43], -v[16:17]
	v_add_f64_e32 v[32:33], v[88:89], v[6:7]
	v_mul_f64_e32 v[6:7], s[0:1], v[8:9]
	v_mul_f64_e32 v[88:89], s[12:13], v[170:171]
	v_fma_f64 v[96:97], v[10:11], s[44:45], v[84:85]
	v_fma_f64 v[84:85], v[10:11], s[44:45], -v[84:85]
	v_fma_f64 v[10:11], v[10:11], s[36:37], -v[234:235]
	v_add_f64_e32 v[36:37], v[76:77], v[12:13]
	v_add_f64_e32 v[12:13], v[74:75], v[58:59]
	v_mul_f64_e32 v[58:59], s[8:9], v[8:9]
	v_mul_f64_e32 v[74:75], s[10:11], v[8:9]
	;; [unrolled: 1-line block ×3, first 2 shown]
	v_add_f64_e32 v[66:67], v[82:83], v[66:67]
	v_mul_f64_e32 v[76:77], s[0:1], v[170:171]
	v_mul_f64_e32 v[82:83], s[10:11], v[170:171]
	v_add_f64_e32 v[62:63], v[80:81], v[62:63]
	v_mul_f64_e32 v[80:81], s[8:9], v[170:171]
	v_add_f64_e32 v[38:39], v[38:39], v[60:61]
	v_add_f64_e32 v[56:57], v[90:91], v[56:57]
	;; [unrolled: 1-line block ×4, first 2 shown]
	v_fma_f64 v[22:23], v[4:5], s[42:43], -v[212:213]
	v_add_f64_e32 v[98:99], v[18:19], v[30:31]
	v_add_f64_e32 v[100:101], v[16:17], v[28:29]
	v_fma_f64 v[30:31], v[154:155], s[30:31], v[88:89]
	v_add_f64_e32 v[78:79], v[96:97], v[78:79]
	v_fma_f64 v[60:61], v[4:5], s[40:41], v[6:7]
	v_fma_f64 v[96:97], v[4:5], s[40:41], -v[6:7]
	v_add_f64_e32 v[64:65], v[84:85], v[64:65]
	v_fma_f64 v[90:91], v[154:155], s[42:43], v[214:215]
	v_add_f64_e32 v[108:109], v[10:11], v[20:21]
	v_fma_f64 v[84:85], v[4:5], s[38:39], v[58:59]
	v_fma_f64 v[58:59], v[4:5], s[38:39], -v[58:59]
	v_fma_f64 v[16:17], v[4:5], s[30:31], -v[8:9]
	;; [unrolled: 1-line block ×3, first 2 shown]
	v_fma_f64 v[74:75], v[4:5], s[36:37], v[74:75]
	v_fma_f64 v[102:103], v[4:5], s[30:31], v[8:9]
	v_fma_f64 v[28:29], v[154:155], s[40:41], -v[76:77]
	v_fma_f64 v[4:5], v[154:155], s[40:41], v[76:77]
	v_add_f64_e32 v[76:77], v[14:15], v[26:27]
	v_fma_f64 v[26:27], v[154:155], s[36:37], v[82:83]
	v_fma_f64 v[8:9], v[154:155], s[38:39], v[80:81]
	v_fma_f64 v[106:107], v[154:155], s[38:39], -v[80:81]
	v_fma_f64 v[80:81], v[154:155], s[36:37], -v[82:83]
	;; [unrolled: 1-line block ×4, first 2 shown]
	v_add_f64_e32 v[6:7], v[22:23], v[86:87]
	v_add_f64_e32 v[20:21], v[30:31], v[72:73]
	;; [unrolled: 1-line block ×20, first 2 shown]
	ds_store_b128 v255, v[0:3]
	ds_store_b128 v255, v[180:183] offset:800
	ds_store_b128 v255, v[20:23] offset:1600
	;; [unrolled: 1-line block ×16, first 2 shown]
.LBB0_9:
	s_or_b32 exec_lo, exec_lo, s33
	global_wb scope:SCOPE_SE
	s_wait_storecnt_dscnt 0x0
	s_barrier_signal -1
	s_barrier_wait -1
	global_inv scope:SCOPE_SE
	ds_load_b128 v[0:3], v255
	ds_load_b128 v[4:7], v255 offset:1360
	ds_load_b128 v[8:11], v255 offset:2720
	;; [unrolled: 1-line block ×3, first 2 shown]
	scratch_load_b64 v[16:17], off, off offset:20 th:TH_LOAD_LU ; 8-byte Folded Reload
	s_mul_u64 s[0:1], s[4:5], 0x550
	s_wait_loadcnt 0x0
	v_mov_b32_e32 v60, v16
	ds_load_b128 v[16:19], v255 offset:5440
	ds_load_b128 v[20:23], v255 offset:6800
	scratch_load_b32 v85, off, off offset:16 th:TH_LOAD_LU ; 4-byte Folded Reload
	ds_load_b128 v[24:27], v255 offset:8160
	ds_load_b128 v[28:31], v255 offset:9520
	ds_load_b128 v[32:35], v255 offset:10880
	ds_load_b128 v[36:39], v255 offset:12240
	scratch_load_b128 v[87:90], off, off offset:28 th:TH_LOAD_LU ; 16-byte Folded Reload
	s_wait_loadcnt 0x1
	v_mad_co_u64_u32 v[42:43], null, s4, v85, 0
	s_wait_loadcnt_dscnt 0x9
	v_mul_f64_e32 v[44:45], v[89:90], v[2:3]
	v_mul_f64_e32 v[46:47], v[89:90], v[0:1]
	scratch_load_b128 v[89:92], off, off offset:44 th:TH_LOAD_LU ; 16-byte Folded Reload
	v_mad_co_u64_u32 v[85:86], null, s5, v85, v[43:44]
	v_fma_f64 v[0:1], v[87:88], v[0:1], v[44:45]
	v_fma_f64 v[2:3], v[87:88], v[2:3], -v[46:47]
	s_delay_alu instid0(VALU_DEP_3) | instskip(SKIP_1) | instid1(VALU_DEP_1)
	v_mov_b32_e32 v43, v85
	v_mad_co_u64_u32 v[40:41], null, s6, v60, 0
	v_mad_co_u64_u32 v[60:61], null, s7, v60, v[41:42]
	s_delay_alu instid0(VALU_DEP_3) | instskip(NEXT) | instid1(VALU_DEP_2)
	v_lshlrev_b64_e32 v[42:43], 4, v[42:43]
	v_mov_b32_e32 v41, v60
	s_delay_alu instid0(VALU_DEP_1) | instskip(NEXT) | instid1(VALU_DEP_1)
	v_lshlrev_b64_e32 v[40:41], 4, v[40:41]
	v_add_co_u32 v40, vcc_lo, s2, v40
	s_wait_alu 0xfffd
	s_delay_alu instid0(VALU_DEP_2) | instskip(SKIP_1) | instid1(VALU_DEP_2)
	v_add_co_ci_u32_e32 v41, vcc_lo, s3, v41, vcc_lo
	s_mov_b32 s2, 0xace01346
	v_add_co_u32 v40, vcc_lo, v40, v42
	s_wait_alu 0xfffd
	s_delay_alu instid0(VALU_DEP_2)
	v_add_co_ci_u32_e32 v41, vcc_lo, v41, v43, vcc_lo
	s_mov_b32 s3, 0x3f534679
	s_wait_alu 0xfffe
	v_add_co_u32 v42, vcc_lo, v40, s0
	s_wait_alu 0xfffd
	v_add_co_ci_u32_e32 v43, vcc_lo, s1, v41, vcc_lo
	v_mul_f64_e32 v[0:1], s[2:3], v[0:1]
	v_mul_f64_e32 v[2:3], s[2:3], v[2:3]
	v_add_co_u32 v44, vcc_lo, v42, s0
	s_wait_alu 0xfffd
	v_add_co_ci_u32_e32 v45, vcc_lo, s1, v43, vcc_lo
	s_delay_alu instid0(VALU_DEP_2) | instskip(SKIP_1) | instid1(VALU_DEP_2)
	v_add_co_u32 v46, vcc_lo, v44, s0
	s_wait_alu 0xfffd
	v_add_co_ci_u32_e32 v47, vcc_lo, s1, v45, vcc_lo
	s_wait_loadcnt_dscnt 0x8
	v_mul_f64_e32 v[48:49], v[91:92], v[6:7]
	v_mul_f64_e32 v[50:51], v[91:92], v[4:5]
	scratch_load_b128 v[91:94], off, off offset:60 th:TH_LOAD_LU ; 16-byte Folded Reload
	v_fma_f64 v[4:5], v[89:90], v[4:5], v[48:49]
	v_fma_f64 v[6:7], v[89:90], v[6:7], -v[50:51]
	v_add_co_u32 v48, vcc_lo, v46, s0
	s_wait_alu 0xfffd
	v_add_co_ci_u32_e32 v49, vcc_lo, s1, v47, vcc_lo
	s_delay_alu instid0(VALU_DEP_2) | instskip(SKIP_1) | instid1(VALU_DEP_2)
	v_add_co_u32 v50, vcc_lo, v48, s0
	s_wait_alu 0xfffd
	v_add_co_ci_u32_e32 v51, vcc_lo, s1, v49, vcc_lo
	v_mul_f64_e32 v[4:5], s[2:3], v[4:5]
	v_mul_f64_e32 v[6:7], s[2:3], v[6:7]
	s_wait_loadcnt_dscnt 0x7
	v_mul_f64_e32 v[52:53], v[93:94], v[10:11]
	v_mul_f64_e32 v[54:55], v[93:94], v[8:9]
	scratch_load_b128 v[93:96], off, off offset:76 th:TH_LOAD_LU ; 16-byte Folded Reload
	v_fma_f64 v[8:9], v[91:92], v[8:9], v[52:53]
	v_fma_f64 v[10:11], v[91:92], v[10:11], -v[54:55]
	v_add_co_u32 v52, vcc_lo, v50, s0
	s_wait_alu 0xfffd
	v_add_co_ci_u32_e32 v53, vcc_lo, s1, v51, vcc_lo
	s_delay_alu instid0(VALU_DEP_2) | instskip(SKIP_1) | instid1(VALU_DEP_2)
	v_add_co_u32 v54, vcc_lo, v52, s0
	s_wait_alu 0xfffd
	v_add_co_ci_u32_e32 v55, vcc_lo, s1, v53, vcc_lo
	v_mul_f64_e32 v[8:9], s[2:3], v[8:9]
	v_mul_f64_e32 v[10:11], s[2:3], v[10:11]
	s_wait_loadcnt_dscnt 0x6
	v_mul_f64_e32 v[56:57], v[95:96], v[14:15]
	v_mul_f64_e32 v[58:59], v[95:96], v[12:13]
	scratch_load_b128 v[95:98], off, off offset:92 th:TH_LOAD_LU ; 16-byte Folded Reload
	v_fma_f64 v[12:13], v[93:94], v[12:13], v[56:57]
	v_fma_f64 v[14:15], v[93:94], v[14:15], -v[58:59]
	v_add_co_u32 v56, vcc_lo, v54, s0
	s_wait_alu 0xfffd
	v_add_co_ci_u32_e32 v57, vcc_lo, s1, v55, vcc_lo
	s_delay_alu instid0(VALU_DEP_4) | instskip(NEXT) | instid1(VALU_DEP_4)
	v_mul_f64_e32 v[12:13], s[2:3], v[12:13]
	v_mul_f64_e32 v[14:15], s[2:3], v[14:15]
	s_wait_loadcnt_dscnt 0x5
	v_mul_f64_e32 v[61:62], v[97:98], v[18:19]
	v_mul_f64_e32 v[63:64], v[97:98], v[16:17]
	scratch_load_b128 v[97:100], off, off offset:108 th:TH_LOAD_LU ; 16-byte Folded Reload
	v_fma_f64 v[16:17], v[95:96], v[16:17], v[61:62]
	v_fma_f64 v[18:19], v[95:96], v[18:19], -v[63:64]
	s_delay_alu instid0(VALU_DEP_2) | instskip(NEXT) | instid1(VALU_DEP_2)
	v_mul_f64_e32 v[16:17], s[2:3], v[16:17]
	v_mul_f64_e32 v[18:19], s[2:3], v[18:19]
	s_wait_loadcnt_dscnt 0x4
	v_mul_f64_e32 v[65:66], v[99:100], v[22:23]
	v_mul_f64_e32 v[67:68], v[99:100], v[20:21]
	scratch_load_b128 v[99:102], off, off offset:124 th:TH_LOAD_LU ; 16-byte Folded Reload
	v_fma_f64 v[20:21], v[97:98], v[20:21], v[65:66]
	v_fma_f64 v[22:23], v[97:98], v[22:23], -v[67:68]
	s_delay_alu instid0(VALU_DEP_2) | instskip(NEXT) | instid1(VALU_DEP_2)
	;; [unrolled: 9-line block ×4, first 2 shown]
	v_mul_f64_e32 v[28:29], s[2:3], v[28:29]
	v_mul_f64_e32 v[30:31], s[2:3], v[30:31]
	s_wait_loadcnt_dscnt 0x1
	v_mul_f64_e32 v[77:78], v[105:106], v[34:35]
	v_mul_f64_e32 v[79:80], v[105:106], v[32:33]
	scratch_load_b128 v[105:108], off, off offset:172 th:TH_LOAD_LU ; 16-byte Folded Reload
	s_clause 0x4
	global_store_b128 v[40:41], v[0:3], off
	global_store_b128 v[42:43], v[4:7], off
	;; [unrolled: 1-line block ×5, first 2 shown]
	v_add_co_u32 v0, vcc_lo, v56, s0
	s_wait_alu 0xfffd
	v_add_co_ci_u32_e32 v1, vcc_lo, s1, v57, vcc_lo
	v_fma_f64 v[32:33], v[103:104], v[32:33], v[77:78]
	v_fma_f64 v[34:35], v[103:104], v[34:35], -v[79:80]
	s_delay_alu instid0(VALU_DEP_2) | instskip(NEXT) | instid1(VALU_DEP_2)
	v_mul_f64_e32 v[32:33], s[2:3], v[32:33]
	v_mul_f64_e32 v[34:35], s[2:3], v[34:35]
	s_wait_loadcnt_dscnt 0x0
	v_mul_f64_e32 v[81:82], v[107:108], v[38:39]
	v_mul_f64_e32 v[83:84], v[107:108], v[36:37]
	s_delay_alu instid0(VALU_DEP_2) | instskip(NEXT) | instid1(VALU_DEP_2)
	v_fma_f64 v[36:37], v[105:106], v[36:37], v[81:82]
	v_fma_f64 v[38:39], v[105:106], v[38:39], -v[83:84]
	s_delay_alu instid0(VALU_DEP_2) | instskip(NEXT) | instid1(VALU_DEP_2)
	v_mul_f64_e32 v[36:37], s[2:3], v[36:37]
	v_mul_f64_e32 v[38:39], s[2:3], v[38:39]
	global_store_b128 v[50:51], v[20:23], off
	global_store_b128 v[52:53], v[24:27], off
	;; [unrolled: 1-line block ×5, first 2 shown]
.LBB0_10:
	s_nop 0
	s_sendmsg sendmsg(MSG_DEALLOC_VGPRS)
	s_endpgm
	.section	.rodata,"a",@progbits
	.p2align	6, 0x0
	.amdhsa_kernel bluestein_single_fwd_len850_dim1_dp_op_CI_CI
		.amdhsa_group_segment_fixed_size 13600
		.amdhsa_private_segment_fixed_size 1544
		.amdhsa_kernarg_size 104
		.amdhsa_user_sgpr_count 2
		.amdhsa_user_sgpr_dispatch_ptr 0
		.amdhsa_user_sgpr_queue_ptr 0
		.amdhsa_user_sgpr_kernarg_segment_ptr 1
		.amdhsa_user_sgpr_dispatch_id 0
		.amdhsa_user_sgpr_private_segment_size 0
		.amdhsa_wavefront_size32 1
		.amdhsa_uses_dynamic_stack 0
		.amdhsa_enable_private_segment 1
		.amdhsa_system_sgpr_workgroup_id_x 1
		.amdhsa_system_sgpr_workgroup_id_y 0
		.amdhsa_system_sgpr_workgroup_id_z 0
		.amdhsa_system_sgpr_workgroup_info 0
		.amdhsa_system_vgpr_workitem_id 0
		.amdhsa_next_free_vgpr 256
		.amdhsa_next_free_sgpr 58
		.amdhsa_reserve_vcc 1
		.amdhsa_float_round_mode_32 0
		.amdhsa_float_round_mode_16_64 0
		.amdhsa_float_denorm_mode_32 3
		.amdhsa_float_denorm_mode_16_64 3
		.amdhsa_fp16_overflow 0
		.amdhsa_workgroup_processor_mode 1
		.amdhsa_memory_ordered 1
		.amdhsa_forward_progress 0
		.amdhsa_round_robin_scheduling 0
		.amdhsa_exception_fp_ieee_invalid_op 0
		.amdhsa_exception_fp_denorm_src 0
		.amdhsa_exception_fp_ieee_div_zero 0
		.amdhsa_exception_fp_ieee_overflow 0
		.amdhsa_exception_fp_ieee_underflow 0
		.amdhsa_exception_fp_ieee_inexact 0
		.amdhsa_exception_int_div_zero 0
	.end_amdhsa_kernel
	.text
.Lfunc_end0:
	.size	bluestein_single_fwd_len850_dim1_dp_op_CI_CI, .Lfunc_end0-bluestein_single_fwd_len850_dim1_dp_op_CI_CI
                                        ; -- End function
	.section	.AMDGPU.csdata,"",@progbits
; Kernel info:
; codeLenInByte = 24524
; NumSgprs: 60
; NumVgprs: 256
; ScratchSize: 1544
; MemoryBound: 0
; FloatMode: 240
; IeeeMode: 1
; LDSByteSize: 13600 bytes/workgroup (compile time only)
; SGPRBlocks: 7
; VGPRBlocks: 31
; NumSGPRsForWavesPerEU: 60
; NumVGPRsForWavesPerEU: 256
; Occupancy: 5
; WaveLimiterHint : 1
; COMPUTE_PGM_RSRC2:SCRATCH_EN: 1
; COMPUTE_PGM_RSRC2:USER_SGPR: 2
; COMPUTE_PGM_RSRC2:TRAP_HANDLER: 0
; COMPUTE_PGM_RSRC2:TGID_X_EN: 1
; COMPUTE_PGM_RSRC2:TGID_Y_EN: 0
; COMPUTE_PGM_RSRC2:TGID_Z_EN: 0
; COMPUTE_PGM_RSRC2:TIDIG_COMP_CNT: 0
	.text
	.p2alignl 7, 3214868480
	.fill 96, 4, 3214868480
	.type	__hip_cuid_8c856f3349a954ee,@object ; @__hip_cuid_8c856f3349a954ee
	.section	.bss,"aw",@nobits
	.globl	__hip_cuid_8c856f3349a954ee
__hip_cuid_8c856f3349a954ee:
	.byte	0                               ; 0x0
	.size	__hip_cuid_8c856f3349a954ee, 1

	.ident	"AMD clang version 19.0.0git (https://github.com/RadeonOpenCompute/llvm-project roc-6.4.0 25133 c7fe45cf4b819c5991fe208aaa96edf142730f1d)"
	.section	".note.GNU-stack","",@progbits
	.addrsig
	.addrsig_sym __hip_cuid_8c856f3349a954ee
	.amdgpu_metadata
---
amdhsa.kernels:
  - .args:
      - .actual_access:  read_only
        .address_space:  global
        .offset:         0
        .size:           8
        .value_kind:     global_buffer
      - .actual_access:  read_only
        .address_space:  global
        .offset:         8
        .size:           8
        .value_kind:     global_buffer
      - .actual_access:  read_only
        .address_space:  global
        .offset:         16
        .size:           8
        .value_kind:     global_buffer
      - .actual_access:  read_only
        .address_space:  global
        .offset:         24
        .size:           8
        .value_kind:     global_buffer
      - .actual_access:  read_only
        .address_space:  global
        .offset:         32
        .size:           8
        .value_kind:     global_buffer
      - .offset:         40
        .size:           8
        .value_kind:     by_value
      - .address_space:  global
        .offset:         48
        .size:           8
        .value_kind:     global_buffer
      - .address_space:  global
        .offset:         56
        .size:           8
        .value_kind:     global_buffer
      - .address_space:  global
        .offset:         64
        .size:           8
        .value_kind:     global_buffer
      - .address_space:  global
        .offset:         72
        .size:           8
        .value_kind:     global_buffer
      - .offset:         80
        .size:           4
        .value_kind:     by_value
      - .address_space:  global
        .offset:         88
        .size:           8
        .value_kind:     global_buffer
      - .address_space:  global
        .offset:         96
        .size:           8
        .value_kind:     global_buffer
    .group_segment_fixed_size: 13600
    .kernarg_segment_align: 8
    .kernarg_segment_size: 104
    .language:       OpenCL C
    .language_version:
      - 2
      - 0
    .max_flat_workgroup_size: 85
    .name:           bluestein_single_fwd_len850_dim1_dp_op_CI_CI
    .private_segment_fixed_size: 1544
    .sgpr_count:     60
    .sgpr_spill_count: 0
    .symbol:         bluestein_single_fwd_len850_dim1_dp_op_CI_CI.kd
    .uniform_work_group_size: 1
    .uses_dynamic_stack: false
    .vgpr_count:     256
    .vgpr_spill_count: 413
    .wavefront_size: 32
    .workgroup_processor_mode: 1
amdhsa.target:   amdgcn-amd-amdhsa--gfx1201
amdhsa.version:
  - 1
  - 2
...

	.end_amdgpu_metadata
